;; amdgpu-corpus repo=pytorch/pytorch kind=compiled arch=gfx906 opt=O3
	.amdgcn_target "amdgcn-amd-amdhsa--gfx906"
	.amdhsa_code_object_version 6
	.section	.text._ZN2at6native12_GLOBAL__N_128upsample_nearest3d_out_frameIdXadL_ZNS0_37nearest_neighbor_compute_source_indexEfiiEEEEvPKT_mmmmmmmmPS3_fff,"axG",@progbits,_ZN2at6native12_GLOBAL__N_128upsample_nearest3d_out_frameIdXadL_ZNS0_37nearest_neighbor_compute_source_indexEfiiEEEEvPKT_mmmmmmmmPS3_fff,comdat
	.globl	_ZN2at6native12_GLOBAL__N_128upsample_nearest3d_out_frameIdXadL_ZNS0_37nearest_neighbor_compute_source_indexEfiiEEEEvPKT_mmmmmmmmPS3_fff ; -- Begin function _ZN2at6native12_GLOBAL__N_128upsample_nearest3d_out_frameIdXadL_ZNS0_37nearest_neighbor_compute_source_indexEfiiEEEEvPKT_mmmmmmmmPS3_fff
	.p2align	8
	.type	_ZN2at6native12_GLOBAL__N_128upsample_nearest3d_out_frameIdXadL_ZNS0_37nearest_neighbor_compute_source_indexEfiiEEEEvPKT_mmmmmmmmPS3_fff,@function
_ZN2at6native12_GLOBAL__N_128upsample_nearest3d_out_frameIdXadL_ZNS0_37nearest_neighbor_compute_source_indexEfiiEEEEvPKT_mmmmmmmmPS3_fff: ; @_ZN2at6native12_GLOBAL__N_128upsample_nearest3d_out_frameIdXadL_ZNS0_37nearest_neighbor_compute_source_indexEfiiEEEEvPKT_mmmmmmmmPS3_fff
; %bb.0:
	s_load_dword s0, s[4:5], 0x6c
	s_load_dwordx4 s[24:27], s[4:5], 0x40
	s_load_dwordx16 s[8:23], s[4:5], 0x0
	v_mov_b32_e32 v2, 0
	v_mov_b32_e32 v1, v2
	s_waitcnt lgkmcnt(0)
	s_and_b32 s0, s0, 0xffff
	v_mov_b32_e32 v3, s6
	v_mad_u64_u32 v[0:1], s[0:1], s0, v3, v[0:1]
	s_mul_i32 s0, s22, s21
	s_mul_hi_u32 s1, s22, s20
	s_add_i32 s1, s1, s0
	s_mul_i32 s0, s23, s20
	s_add_i32 s1, s1, s0
	s_mul_i32 s0, s22, s20
	s_mul_i32 s2, s0, s13
	s_mul_hi_u32 s3, s0, s12
	s_add_i32 s2, s3, s2
	s_mul_i32 s3, s1, s12
	s_mul_i32 s6, s0, s12
	s_add_i32 s2, s2, s3
	s_mul_i32 s3, s6, s25
	s_mul_hi_u32 s7, s6, s24
	s_mul_i32 s2, s2, s24
	s_add_i32 s3, s7, s3
	s_add_i32 s3, s3, s2
	s_mul_i32 s2, s6, s24
	v_cmp_gt_u64_e32 vcc, s[2:3], v[0:1]
	s_cmp_lg_u64 s[10:11], 0
	s_cselect_b64 s[2:3], -1, 0
	s_and_b64 s[2:3], vcc, s[2:3]
	s_and_saveexec_b64 s[6:7], s[2:3]
	s_cbranch_execz .LBB0_31
; %bb.1:
	s_mul_i32 s2, s0, s25
	s_mul_hi_u32 s3, s0, s24
	s_add_i32 s2, s3, s2
	s_mul_i32 s1, s1, s24
	s_add_i32 s1, s2, s1
	v_or_b32_e32 v3, s1, v1
	v_cmp_ne_u64_e32 vcc, 0, v[2:3]
	s_mul_i32 s30, s0, s24
                                        ; implicit-def: $vgpr4_vgpr5
	s_and_saveexec_b64 s[2:3], vcc
	s_xor_b64 s[2:3], exec, s[2:3]
	s_cbranch_execz .LBB0_3
; %bb.2:
	s_ashr_i32 s6, s1, 31
	s_add_u32 s0, s30, s6
	s_mov_b32 s7, s6
	s_addc_u32 s1, s1, s6
	s_xor_b64 s[28:29], s[0:1], s[6:7]
	v_cvt_f32_u32_e32 v2, s28
	v_cvt_f32_u32_e32 v3, s29
	s_sub_u32 s7, 0, s28
	s_subb_u32 s31, 0, s29
	v_ashrrev_i32_e32 v6, 31, v1
	v_madmk_f32 v2, v3, 0x4f800000, v2
	v_rcp_f32_e32 v2, v2
	v_mul_f32_e32 v2, 0x5f7ffffc, v2
	v_mul_f32_e32 v3, 0x2f800000, v2
	v_trunc_f32_e32 v3, v3
	v_madmk_f32 v2, v3, 0xcf800000, v2
	v_cvt_u32_f32_e32 v3, v3
	v_cvt_u32_f32_e32 v2, v2
	v_readfirstlane_b32 s33, v3
	v_readfirstlane_b32 s0, v2
	s_mul_i32 s1, s7, s33
	s_mul_hi_u32 s35, s7, s0
	s_mul_i32 s34, s31, s0
	s_add_i32 s1, s35, s1
	s_add_i32 s1, s1, s34
	s_mul_i32 s36, s7, s0
	s_mul_i32 s35, s0, s1
	s_mul_hi_u32 s37, s0, s36
	s_mul_hi_u32 s34, s0, s1
	s_add_u32 s35, s37, s35
	s_addc_u32 s34, 0, s34
	s_mul_hi_u32 s38, s33, s36
	s_mul_i32 s36, s33, s36
	s_add_u32 s35, s35, s36
	s_mul_hi_u32 s37, s33, s1
	s_addc_u32 s34, s34, s38
	s_addc_u32 s35, s37, 0
	s_mul_i32 s1, s33, s1
	s_add_u32 s1, s34, s1
	s_addc_u32 s34, 0, s35
	s_add_u32 s35, s0, s1
	s_cselect_b64 s[0:1], -1, 0
	s_cmp_lg_u64 s[0:1], 0
	s_addc_u32 s33, s33, s34
	s_mul_i32 s0, s7, s33
	s_mul_hi_u32 s1, s7, s35
	s_add_i32 s0, s1, s0
	s_mul_i32 s31, s31, s35
	s_add_i32 s0, s0, s31
	s_mul_i32 s7, s7, s35
	s_mul_hi_u32 s31, s33, s7
	s_mul_i32 s34, s33, s7
	s_mul_i32 s37, s35, s0
	s_mul_hi_u32 s7, s35, s7
	s_mul_hi_u32 s36, s35, s0
	s_add_u32 s7, s7, s37
	s_addc_u32 s36, 0, s36
	s_add_u32 s7, s7, s34
	s_mul_hi_u32 s1, s33, s0
	s_addc_u32 s7, s36, s31
	s_addc_u32 s1, s1, 0
	s_mul_i32 s0, s33, s0
	s_add_u32 s0, s7, s0
	s_addc_u32 s7, 0, s1
	s_add_u32 s31, s35, s0
	s_cselect_b64 s[0:1], -1, 0
	s_cmp_lg_u64 s[0:1], 0
	v_add_co_u32_e32 v2, vcc, v0, v6
	s_addc_u32 s7, s33, s7
	v_xor_b32_e32 v7, v2, v6
	v_mad_u64_u32 v[2:3], s[0:1], v7, s7, 0
	v_mul_hi_u32 v5, v7, s31
	v_addc_co_u32_e32 v4, vcc, v1, v6, vcc
	v_xor_b32_e32 v8, v4, v6
	v_add_co_u32_e32 v9, vcc, v5, v2
	v_addc_co_u32_e32 v10, vcc, 0, v3, vcc
	v_mad_u64_u32 v[2:3], s[0:1], v8, s31, 0
	v_mad_u64_u32 v[4:5], s[0:1], v8, s7, 0
	v_add_co_u32_e32 v2, vcc, v9, v2
	v_addc_co_u32_e32 v2, vcc, v10, v3, vcc
	v_addc_co_u32_e32 v3, vcc, 0, v5, vcc
	v_add_co_u32_e32 v4, vcc, v2, v4
	v_addc_co_u32_e32 v5, vcc, 0, v3, vcc
	v_mul_lo_u32 v9, s29, v4
	v_mul_lo_u32 v10, s28, v5
	v_mad_u64_u32 v[2:3], s[0:1], s28, v4, 0
	v_add3_u32 v3, v3, v10, v9
	v_sub_u32_e32 v9, v8, v3
	v_mov_b32_e32 v10, s29
	v_sub_co_u32_e32 v2, vcc, v7, v2
	v_subb_co_u32_e64 v7, s[0:1], v9, v10, vcc
	v_subrev_co_u32_e64 v9, s[0:1], s28, v2
	v_subbrev_co_u32_e64 v7, s[0:1], 0, v7, s[0:1]
	v_cmp_le_u32_e64 s[0:1], s29, v7
	v_cndmask_b32_e64 v10, 0, -1, s[0:1]
	v_cmp_le_u32_e64 s[0:1], s28, v9
	v_cndmask_b32_e64 v9, 0, -1, s[0:1]
	v_cmp_eq_u32_e64 s[0:1], s29, v7
	v_cndmask_b32_e64 v7, v10, v9, s[0:1]
	v_add_co_u32_e64 v9, s[0:1], 2, v4
	v_subb_co_u32_e32 v3, vcc, v8, v3, vcc
	v_addc_co_u32_e64 v10, s[0:1], 0, v5, s[0:1]
	v_cmp_le_u32_e32 vcc, s29, v3
	v_add_co_u32_e64 v11, s[0:1], 1, v4
	v_cndmask_b32_e64 v8, 0, -1, vcc
	v_cmp_le_u32_e32 vcc, s28, v2
	v_addc_co_u32_e64 v12, s[0:1], 0, v5, s[0:1]
	v_cndmask_b32_e64 v2, 0, -1, vcc
	v_cmp_eq_u32_e32 vcc, s29, v3
	v_cmp_ne_u32_e64 s[0:1], 0, v7
	v_cndmask_b32_e32 v2, v8, v2, vcc
	v_cndmask_b32_e64 v7, v12, v10, s[0:1]
	v_cmp_ne_u32_e32 vcc, 0, v2
	v_cndmask_b32_e64 v3, v11, v9, s[0:1]
	v_cndmask_b32_e32 v2, v5, v7, vcc
	v_cndmask_b32_e32 v3, v4, v3, vcc
	v_xor_b32_e32 v5, s6, v6
	v_xor_b32_e32 v3, v3, v5
	;; [unrolled: 1-line block ×3, first 2 shown]
	v_sub_co_u32_e32 v4, vcc, v3, v5
	v_subb_co_u32_e32 v5, vcc, v2, v5, vcc
.LBB0_3:
	s_andn2_saveexec_b64 s[0:1], s[2:3]
	s_cbranch_execz .LBB0_5
; %bb.4:
	v_cvt_f32_u32_e32 v2, s30
	s_sub_i32 s2, 0, s30
	v_rcp_iflag_f32_e32 v2, v2
	v_mul_f32_e32 v2, 0x4f7ffffe, v2
	v_cvt_u32_f32_e32 v2, v2
	v_mul_lo_u32 v3, s2, v2
	v_mul_hi_u32 v3, v2, v3
	v_add_u32_e32 v2, v2, v3
	v_mul_hi_u32 v2, v0, v2
	v_mul_lo_u32 v3, v2, s30
	v_add_u32_e32 v4, 1, v2
	v_sub_u32_e32 v3, v0, v3
	v_subrev_u32_e32 v5, s30, v3
	v_cmp_le_u32_e32 vcc, s30, v3
	v_cndmask_b32_e32 v3, v3, v5, vcc
	v_cndmask_b32_e32 v2, v2, v4, vcc
	v_add_u32_e32 v4, 1, v2
	v_cmp_le_u32_e32 vcc, s30, v3
	v_cndmask_b32_e32 v4, v2, v4, vcc
	v_mov_b32_e32 v5, 0
.LBB0_5:
	s_or_b64 exec, exec, s[0:1]
	v_or_b32_e32 v3, s13, v5
	v_mov_b32_e32 v2, 0
	v_cmp_ne_u64_e32 vcc, 0, v[2:3]
                                        ; implicit-def: $vgpr2_vgpr3
	s_and_saveexec_b64 s[0:1], vcc
	s_xor_b64 s[2:3], exec, s[0:1]
	s_cbranch_execz .LBB0_7
; %bb.6:
	v_cvt_f32_u32_e32 v2, s12
	v_cvt_f32_u32_e32 v3, s13
	s_sub_u32 s6, 0, s12
	s_subb_u32 s7, 0, s13
	v_madmk_f32 v2, v3, 0x4f800000, v2
	v_rcp_f32_e32 v2, v2
	v_mul_f32_e32 v2, 0x5f7ffffc, v2
	v_mul_f32_e32 v3, 0x2f800000, v2
	v_trunc_f32_e32 v3, v3
	v_madmk_f32 v2, v3, 0xcf800000, v2
	v_cvt_u32_f32_e32 v3, v3
	v_cvt_u32_f32_e32 v2, v2
	v_readfirstlane_b32 s28, v3
	v_readfirstlane_b32 s0, v2
	s_mul_i32 s1, s6, s28
	s_mul_hi_u32 s30, s6, s0
	s_mul_i32 s29, s7, s0
	s_add_i32 s1, s30, s1
	s_mul_i32 s31, s6, s0
	s_add_i32 s1, s1, s29
	s_mul_i32 s30, s0, s1
	s_mul_hi_u32 s33, s0, s31
	s_mul_hi_u32 s29, s0, s1
	s_add_u32 s30, s33, s30
	s_addc_u32 s29, 0, s29
	s_mul_hi_u32 s34, s28, s31
	s_mul_i32 s31, s28, s31
	s_add_u32 s30, s30, s31
	s_mul_hi_u32 s33, s28, s1
	s_addc_u32 s29, s29, s34
	s_addc_u32 s30, s33, 0
	s_mul_i32 s1, s28, s1
	s_add_u32 s1, s29, s1
	s_addc_u32 s29, 0, s30
	s_add_u32 s30, s0, s1
	s_cselect_b64 s[0:1], -1, 0
	s_cmp_lg_u64 s[0:1], 0
	s_addc_u32 s28, s28, s29
	s_mul_i32 s0, s6, s28
	s_mul_hi_u32 s1, s6, s30
	s_add_i32 s0, s1, s0
	s_mul_i32 s7, s7, s30
	s_add_i32 s0, s0, s7
	s_mul_i32 s6, s6, s30
	s_mul_hi_u32 s7, s28, s6
	s_mul_i32 s29, s28, s6
	s_mul_i32 s33, s30, s0
	s_mul_hi_u32 s6, s30, s6
	s_mul_hi_u32 s31, s30, s0
	s_add_u32 s6, s6, s33
	s_addc_u32 s31, 0, s31
	s_add_u32 s6, s6, s29
	s_mul_hi_u32 s1, s28, s0
	s_addc_u32 s6, s31, s7
	s_addc_u32 s1, s1, 0
	s_mul_i32 s0, s28, s0
	s_add_u32 s0, s6, s0
	s_addc_u32 s6, 0, s1
	s_add_u32 s7, s30, s0
	s_cselect_b64 s[0:1], -1, 0
	s_cmp_lg_u64 s[0:1], 0
	s_addc_u32 s6, s28, s6
	v_mad_u64_u32 v[2:3], s[0:1], v4, s6, 0
	v_mul_hi_u32 v6, v4, s7
	v_add_co_u32_e32 v8, vcc, v6, v2
	v_addc_co_u32_e32 v9, vcc, 0, v3, vcc
	v_mad_u64_u32 v[2:3], s[0:1], v5, s7, 0
	v_mad_u64_u32 v[6:7], s[0:1], v5, s6, 0
	v_add_co_u32_e32 v2, vcc, v8, v2
	v_addc_co_u32_e32 v2, vcc, v9, v3, vcc
	v_addc_co_u32_e32 v3, vcc, 0, v7, vcc
	v_add_co_u32_e32 v2, vcc, v2, v6
	v_addc_co_u32_e32 v3, vcc, 0, v3, vcc
	v_mul_lo_u32 v6, s13, v2
	v_mul_lo_u32 v7, s12, v3
	v_mad_u64_u32 v[2:3], s[0:1], s12, v2, 0
	v_add3_u32 v3, v3, v7, v6
	v_sub_u32_e32 v6, v5, v3
	v_mov_b32_e32 v7, s13
	v_sub_co_u32_e32 v2, vcc, v4, v2
	v_subb_co_u32_e64 v4, s[0:1], v6, v7, vcc
	v_subrev_co_u32_e64 v6, s[0:1], s12, v2
	v_subbrev_co_u32_e64 v4, s[0:1], 0, v4, s[0:1]
	v_cmp_le_u32_e64 s[0:1], s13, v4
	v_subb_co_u32_e32 v3, vcc, v5, v3, vcc
	v_cndmask_b32_e64 v7, 0, -1, s[0:1]
	v_cmp_le_u32_e64 s[0:1], s12, v6
	v_cmp_le_u32_e32 vcc, s13, v3
	v_cndmask_b32_e64 v8, 0, -1, s[0:1]
	v_cmp_eq_u32_e64 s[0:1], s13, v4
	v_cndmask_b32_e64 v5, 0, -1, vcc
	v_cmp_le_u32_e32 vcc, s12, v2
	v_cndmask_b32_e64 v4, v7, v8, s[0:1]
	v_cndmask_b32_e64 v8, 0, -1, vcc
	v_cmp_eq_u32_e32 vcc, s13, v3
	v_subrev_co_u32_e64 v7, s[0:1], s12, v6
	v_cndmask_b32_e32 v3, v5, v8, vcc
	v_cmp_ne_u32_e32 vcc, 0, v4
	v_cndmask_b32_e32 v4, v6, v7, vcc
	v_cmp_ne_u32_e32 vcc, 0, v3
	v_cndmask_b32_e32 v2, v2, v4, vcc
                                        ; implicit-def: $vgpr4_vgpr5
.LBB0_7:
	s_andn2_saveexec_b64 s[0:1], s[2:3]
	s_cbranch_execz .LBB0_9
; %bb.8:
	v_cvt_f32_u32_e32 v2, s12
	s_sub_i32 s2, 0, s12
	v_rcp_iflag_f32_e32 v2, v2
	v_mul_f32_e32 v2, 0x4f7ffffe, v2
	v_cvt_u32_f32_e32 v2, v2
	v_mul_lo_u32 v3, s2, v2
	v_mul_hi_u32 v3, v2, v3
	v_add_u32_e32 v2, v2, v3
	v_mul_hi_u32 v2, v4, v2
	v_mul_lo_u32 v2, v2, s12
	v_sub_u32_e32 v2, v4, v2
	v_subrev_u32_e32 v3, s12, v2
	v_cmp_le_u32_e32 vcc, s12, v2
	v_cndmask_b32_e32 v2, v2, v3, vcc
	v_subrev_u32_e32 v3, s12, v2
	v_cmp_le_u32_e32 vcc, s12, v2
	v_cndmask_b32_e32 v2, v2, v3, vcc
.LBB0_9:
	s_or_b64 exec, exec, s[0:1]
	v_cvt_f32_u32_e32 v12, s24
	v_cvt_f32_u32_e32 v13, s25
	v_or_b32_e32 v4, s25, v1
	v_mov_b32_e32 v3, 0
	v_cmp_ne_u64_e32 vcc, 0, v[3:4]
                                        ; implicit-def: $vgpr3_vgpr4
	s_and_saveexec_b64 s[0:1], vcc
	s_xor_b64 s[2:3], exec, s[0:1]
	s_cbranch_execz .LBB0_11
; %bb.10:
	v_madmk_f32 v3, v13, 0x4f800000, v12
	v_rcp_f32_e32 v3, v3
	s_sub_u32 s6, 0, s24
	s_subb_u32 s7, 0, s25
	v_mul_f32_e32 v3, 0x5f7ffffc, v3
	v_mul_f32_e32 v4, 0x2f800000, v3
	v_trunc_f32_e32 v4, v4
	v_madmk_f32 v3, v4, 0xcf800000, v3
	v_cvt_u32_f32_e32 v4, v4
	v_cvt_u32_f32_e32 v3, v3
	v_readfirstlane_b32 s28, v4
	v_readfirstlane_b32 s0, v3
	s_mul_i32 s1, s6, s28
	s_mul_hi_u32 s30, s6, s0
	s_mul_i32 s29, s7, s0
	s_add_i32 s1, s30, s1
	s_add_i32 s1, s1, s29
	s_mul_i32 s31, s6, s0
	s_mul_i32 s30, s0, s1
	s_mul_hi_u32 s33, s0, s31
	s_mul_hi_u32 s29, s0, s1
	s_add_u32 s30, s33, s30
	s_addc_u32 s29, 0, s29
	s_mul_hi_u32 s34, s28, s31
	s_mul_i32 s31, s28, s31
	s_add_u32 s30, s30, s31
	s_mul_hi_u32 s33, s28, s1
	s_addc_u32 s29, s29, s34
	s_addc_u32 s30, s33, 0
	s_mul_i32 s1, s28, s1
	s_add_u32 s1, s29, s1
	s_addc_u32 s29, 0, s30
	s_add_u32 s30, s0, s1
	s_cselect_b64 s[0:1], -1, 0
	s_cmp_lg_u64 s[0:1], 0
	s_addc_u32 s28, s28, s29
	s_mul_i32 s0, s6, s28
	s_mul_hi_u32 s1, s6, s30
	s_add_i32 s0, s1, s0
	s_mul_i32 s7, s7, s30
	s_add_i32 s0, s0, s7
	s_mul_i32 s6, s6, s30
	s_mul_hi_u32 s7, s28, s6
	s_mul_i32 s29, s28, s6
	s_mul_i32 s33, s30, s0
	s_mul_hi_u32 s6, s30, s6
	s_mul_hi_u32 s31, s30, s0
	s_add_u32 s6, s6, s33
	s_addc_u32 s31, 0, s31
	s_add_u32 s6, s6, s29
	s_mul_hi_u32 s1, s28, s0
	s_addc_u32 s6, s31, s7
	s_addc_u32 s1, s1, 0
	s_mul_i32 s0, s28, s0
	s_add_u32 s0, s6, s0
	s_addc_u32 s6, 0, s1
	s_add_u32 s7, s30, s0
	s_cselect_b64 s[0:1], -1, 0
	s_cmp_lg_u64 s[0:1], 0
	s_addc_u32 s6, s28, s6
	v_mad_u64_u32 v[3:4], s[0:1], v0, s6, 0
	v_mul_hi_u32 v5, v0, s7
	v_add_co_u32_e32 v7, vcc, v5, v3
	v_addc_co_u32_e32 v8, vcc, 0, v4, vcc
	v_mad_u64_u32 v[3:4], s[0:1], v1, s7, 0
	v_mad_u64_u32 v[5:6], s[0:1], v1, s6, 0
	v_add_co_u32_e32 v3, vcc, v7, v3
	v_addc_co_u32_e32 v3, vcc, v8, v4, vcc
	v_addc_co_u32_e32 v4, vcc, 0, v6, vcc
	v_add_co_u32_e32 v5, vcc, v3, v5
	v_addc_co_u32_e32 v6, vcc, 0, v4, vcc
	v_mul_lo_u32 v7, s25, v5
	v_mul_lo_u32 v8, s24, v6
	v_mad_u64_u32 v[3:4], s[0:1], s24, v5, 0
	v_add3_u32 v4, v4, v8, v7
	v_sub_u32_e32 v7, v1, v4
	v_mov_b32_e32 v8, s25
	v_sub_co_u32_e32 v3, vcc, v0, v3
	v_subb_co_u32_e64 v7, s[0:1], v7, v8, vcc
	v_subrev_co_u32_e64 v8, s[0:1], s24, v3
	v_subbrev_co_u32_e64 v7, s[0:1], 0, v7, s[0:1]
	v_cmp_le_u32_e64 s[0:1], s25, v7
	v_cndmask_b32_e64 v9, 0, -1, s[0:1]
	v_cmp_le_u32_e64 s[0:1], s24, v8
	v_cndmask_b32_e64 v8, 0, -1, s[0:1]
	v_cmp_eq_u32_e64 s[0:1], s25, v7
	v_cndmask_b32_e64 v7, v9, v8, s[0:1]
	v_add_co_u32_e64 v8, s[0:1], 2, v5
	v_addc_co_u32_e64 v9, s[0:1], 0, v6, s[0:1]
	v_add_co_u32_e64 v10, s[0:1], 1, v5
	v_addc_co_u32_e64 v11, s[0:1], 0, v6, s[0:1]
	v_subb_co_u32_e32 v4, vcc, v1, v4, vcc
	v_cmp_ne_u32_e64 s[0:1], 0, v7
	v_cmp_le_u32_e32 vcc, s25, v4
	v_cndmask_b32_e64 v7, v11, v9, s[0:1]
	v_cndmask_b32_e64 v9, 0, -1, vcc
	v_cmp_le_u32_e32 vcc, s24, v3
	v_cndmask_b32_e64 v3, 0, -1, vcc
	v_cmp_eq_u32_e32 vcc, s25, v4
	v_cndmask_b32_e32 v3, v9, v3, vcc
	v_cmp_ne_u32_e32 vcc, 0, v3
	v_cndmask_b32_e64 v3, v10, v8, s[0:1]
	v_cndmask_b32_e32 v4, v6, v7, vcc
	v_cndmask_b32_e32 v3, v5, v3, vcc
.LBB0_11:
	s_or_saveexec_b64 s[0:1], s[2:3]
	v_cvt_f32_u32_e32 v14, s24
	s_xor_b64 exec, exec, s[0:1]
	s_cbranch_execz .LBB0_13
; %bb.12:
	v_rcp_iflag_f32_e32 v3, v14
	s_sub_i32 s2, 0, s24
	v_mul_f32_e32 v3, 0x4f7ffffe, v3
	v_cvt_u32_f32_e32 v3, v3
	v_mul_lo_u32 v4, s2, v3
	v_mul_hi_u32 v4, v3, v4
	v_add_u32_e32 v3, v3, v4
	v_mul_hi_u32 v3, v0, v3
	v_mul_lo_u32 v4, v3, s24
	v_add_u32_e32 v5, 1, v3
	v_sub_u32_e32 v4, v0, v4
	v_subrev_u32_e32 v6, s24, v4
	v_cmp_le_u32_e32 vcc, s24, v4
	v_cndmask_b32_e32 v4, v4, v6, vcc
	v_cndmask_b32_e32 v3, v3, v5, vcc
	v_add_u32_e32 v5, 1, v3
	v_cmp_le_u32_e32 vcc, s24, v4
	v_cndmask_b32_e32 v3, v3, v5, vcc
	v_mov_b32_e32 v4, 0
.LBB0_13:
	s_or_b64 exec, exec, s[0:1]
	v_cvt_f32_u32_e32 v9, s22
	v_cvt_f32_u32_e32 v10, s23
	v_or_b32_e32 v6, s23, v1
	v_mov_b32_e32 v5, 0
	v_cmp_ne_u64_e32 vcc, 0, v[5:6]
                                        ; implicit-def: $vgpr5_vgpr6
	s_and_saveexec_b64 s[0:1], vcc
	s_xor_b64 s[2:3], exec, s[0:1]
	s_cbranch_execz .LBB0_15
; %bb.14:
	v_madmk_f32 v5, v10, 0x4f800000, v9
	v_rcp_f32_e32 v5, v5
	s_sub_u32 s6, 0, s22
	s_subb_u32 s7, 0, s23
	v_mul_f32_e32 v5, 0x5f7ffffc, v5
	v_mul_f32_e32 v6, 0x2f800000, v5
	v_trunc_f32_e32 v6, v6
	v_madmk_f32 v5, v6, 0xcf800000, v5
	v_cvt_u32_f32_e32 v6, v6
	v_cvt_u32_f32_e32 v5, v5
	v_readfirstlane_b32 s28, v6
	v_readfirstlane_b32 s0, v5
	s_mul_i32 s1, s6, s28
	s_mul_hi_u32 s30, s6, s0
	s_mul_i32 s29, s7, s0
	s_add_i32 s1, s30, s1
	s_add_i32 s1, s1, s29
	s_mul_i32 s31, s6, s0
	s_mul_i32 s30, s0, s1
	s_mul_hi_u32 s33, s0, s31
	s_mul_hi_u32 s29, s0, s1
	s_add_u32 s30, s33, s30
	s_addc_u32 s29, 0, s29
	s_mul_hi_u32 s34, s28, s31
	s_mul_i32 s31, s28, s31
	s_add_u32 s30, s30, s31
	s_mul_hi_u32 s33, s28, s1
	s_addc_u32 s29, s29, s34
	s_addc_u32 s30, s33, 0
	s_mul_i32 s1, s28, s1
	s_add_u32 s1, s29, s1
	s_addc_u32 s29, 0, s30
	s_add_u32 s30, s0, s1
	s_cselect_b64 s[0:1], -1, 0
	s_cmp_lg_u64 s[0:1], 0
	s_addc_u32 s28, s28, s29
	s_mul_i32 s0, s6, s28
	s_mul_hi_u32 s1, s6, s30
	s_add_i32 s0, s1, s0
	s_mul_i32 s7, s7, s30
	s_add_i32 s0, s0, s7
	s_mul_i32 s6, s6, s30
	s_mul_hi_u32 s7, s28, s6
	s_mul_i32 s29, s28, s6
	s_mul_i32 s33, s30, s0
	s_mul_hi_u32 s6, s30, s6
	s_mul_hi_u32 s31, s30, s0
	s_add_u32 s6, s6, s33
	s_addc_u32 s31, 0, s31
	s_add_u32 s6, s6, s29
	s_mul_hi_u32 s1, s28, s0
	s_addc_u32 s6, s31, s7
	s_addc_u32 s1, s1, 0
	s_mul_i32 s0, s28, s0
	s_add_u32 s0, s6, s0
	s_addc_u32 s6, 0, s1
	s_add_u32 s7, s30, s0
	s_cselect_b64 s[0:1], -1, 0
	s_cmp_lg_u64 s[0:1], 0
	s_addc_u32 s6, s28, s6
	v_mad_u64_u32 v[5:6], s[0:1], v0, s6, 0
	v_mul_hi_u32 v7, v0, s7
	v_add_co_u32_e32 v11, vcc, v7, v5
	v_addc_co_u32_e32 v15, vcc, 0, v6, vcc
	v_mad_u64_u32 v[5:6], s[0:1], v1, s7, 0
	v_mad_u64_u32 v[7:8], s[0:1], v1, s6, 0
	v_add_co_u32_e32 v5, vcc, v11, v5
	v_addc_co_u32_e32 v5, vcc, v15, v6, vcc
	v_addc_co_u32_e32 v6, vcc, 0, v8, vcc
	v_add_co_u32_e32 v7, vcc, v5, v7
	v_addc_co_u32_e32 v8, vcc, 0, v6, vcc
	v_mul_lo_u32 v11, s23, v7
	v_mul_lo_u32 v15, s22, v8
	v_mad_u64_u32 v[5:6], s[0:1], s22, v7, 0
	v_add3_u32 v6, v6, v15, v11
	v_sub_u32_e32 v11, v1, v6
	v_mov_b32_e32 v15, s23
	v_sub_co_u32_e32 v5, vcc, v0, v5
	v_subb_co_u32_e64 v11, s[0:1], v11, v15, vcc
	v_subrev_co_u32_e64 v15, s[0:1], s22, v5
	v_subbrev_co_u32_e64 v11, s[0:1], 0, v11, s[0:1]
	v_cmp_le_u32_e64 s[0:1], s23, v11
	v_cndmask_b32_e64 v16, 0, -1, s[0:1]
	v_cmp_le_u32_e64 s[0:1], s22, v15
	v_cndmask_b32_e64 v15, 0, -1, s[0:1]
	v_cmp_eq_u32_e64 s[0:1], s23, v11
	v_cndmask_b32_e64 v11, v16, v15, s[0:1]
	v_add_co_u32_e64 v15, s[0:1], 2, v7
	v_addc_co_u32_e64 v16, s[0:1], 0, v8, s[0:1]
	v_add_co_u32_e64 v17, s[0:1], 1, v7
	v_addc_co_u32_e64 v18, s[0:1], 0, v8, s[0:1]
	v_subb_co_u32_e32 v6, vcc, v1, v6, vcc
	v_cmp_ne_u32_e64 s[0:1], 0, v11
	v_cmp_le_u32_e32 vcc, s23, v6
	v_cndmask_b32_e64 v11, v18, v16, s[0:1]
	v_cndmask_b32_e64 v16, 0, -1, vcc
	v_cmp_le_u32_e32 vcc, s22, v5
	v_cndmask_b32_e64 v5, 0, -1, vcc
	v_cmp_eq_u32_e32 vcc, s23, v6
	v_cndmask_b32_e32 v5, v16, v5, vcc
	v_cmp_ne_u32_e32 vcc, 0, v5
	v_cndmask_b32_e64 v5, v17, v15, s[0:1]
	v_cndmask_b32_e32 v6, v8, v11, vcc
	v_cndmask_b32_e32 v5, v7, v5, vcc
.LBB0_15:
	s_or_saveexec_b64 s[0:1], s[2:3]
	v_cvt_f32_u32_e32 v11, s22
	s_xor_b64 exec, exec, s[0:1]
	s_cbranch_execz .LBB0_17
; %bb.16:
	v_rcp_iflag_f32_e32 v5, v11
	s_sub_i32 s2, 0, s22
	v_mul_f32_e32 v5, 0x4f7ffffe, v5
	v_cvt_u32_f32_e32 v5, v5
	v_mul_lo_u32 v6, s2, v5
	v_mul_hi_u32 v6, v5, v6
	v_add_u32_e32 v5, v5, v6
	v_mul_hi_u32 v5, v0, v5
	v_mul_lo_u32 v6, v5, s22
	v_add_u32_e32 v7, 1, v5
	v_sub_u32_e32 v6, v0, v6
	v_subrev_u32_e32 v8, s22, v6
	v_cmp_le_u32_e32 vcc, s22, v6
	v_cndmask_b32_e32 v6, v6, v8, vcc
	v_cndmask_b32_e32 v5, v5, v7, vcc
	v_add_u32_e32 v7, 1, v5
	v_cmp_le_u32_e32 vcc, s22, v6
	v_cndmask_b32_e32 v5, v5, v7, vcc
	v_mov_b32_e32 v6, 0
.LBB0_17:
	s_or_b64 exec, exec, s[0:1]
	v_or_b32_e32 v8, s25, v6
	v_mov_b32_e32 v7, 0
	v_cmp_ne_u64_e32 vcc, 0, v[7:8]
                                        ; implicit-def: $vgpr7_vgpr8
	s_and_saveexec_b64 s[0:1], vcc
	s_xor_b64 s[2:3], exec, s[0:1]
	s_cbranch_execz .LBB0_19
; %bb.18:
	v_madmk_f32 v7, v13, 0x4f800000, v12
	v_rcp_f32_e32 v7, v7
	s_sub_u32 s6, 0, s24
	s_subb_u32 s7, 0, s25
	v_mul_f32_e32 v7, 0x5f7ffffc, v7
	v_mul_f32_e32 v8, 0x2f800000, v7
	v_trunc_f32_e32 v8, v8
	v_madmk_f32 v7, v8, 0xcf800000, v7
	v_cvt_u32_f32_e32 v8, v8
	v_cvt_u32_f32_e32 v7, v7
	v_readfirstlane_b32 s28, v8
	v_readfirstlane_b32 s0, v7
	s_mul_i32 s1, s6, s28
	s_mul_hi_u32 s30, s6, s0
	s_mul_i32 s29, s7, s0
	s_add_i32 s1, s30, s1
	s_add_i32 s1, s1, s29
	s_mul_i32 s31, s6, s0
	s_mul_i32 s30, s0, s1
	s_mul_hi_u32 s33, s0, s31
	s_mul_hi_u32 s29, s0, s1
	s_add_u32 s30, s33, s30
	s_addc_u32 s29, 0, s29
	s_mul_hi_u32 s34, s28, s31
	s_mul_i32 s31, s28, s31
	s_add_u32 s30, s30, s31
	s_mul_hi_u32 s33, s28, s1
	s_addc_u32 s29, s29, s34
	s_addc_u32 s30, s33, 0
	s_mul_i32 s1, s28, s1
	s_add_u32 s1, s29, s1
	s_addc_u32 s29, 0, s30
	s_add_u32 s30, s0, s1
	s_cselect_b64 s[0:1], -1, 0
	s_cmp_lg_u64 s[0:1], 0
	s_addc_u32 s28, s28, s29
	s_mul_i32 s0, s6, s28
	s_mul_hi_u32 s1, s6, s30
	s_add_i32 s0, s1, s0
	s_mul_i32 s7, s7, s30
	s_add_i32 s0, s0, s7
	s_mul_i32 s6, s6, s30
	s_mul_hi_u32 s7, s28, s6
	s_mul_i32 s29, s28, s6
	s_mul_i32 s33, s30, s0
	s_mul_hi_u32 s6, s30, s6
	s_mul_hi_u32 s31, s30, s0
	s_add_u32 s6, s6, s33
	s_addc_u32 s31, 0, s31
	s_add_u32 s6, s6, s29
	s_mul_hi_u32 s1, s28, s0
	s_addc_u32 s6, s31, s7
	s_addc_u32 s1, s1, 0
	s_mul_i32 s0, s28, s0
	s_add_u32 s0, s6, s0
	s_addc_u32 s6, 0, s1
	s_add_u32 s7, s30, s0
	s_cselect_b64 s[0:1], -1, 0
	s_cmp_lg_u64 s[0:1], 0
	s_addc_u32 s6, s28, s6
	v_mad_u64_u32 v[7:8], s[0:1], v5, s6, 0
	v_mul_hi_u32 v12, v5, s7
	v_add_co_u32_e32 v14, vcc, v12, v7
	v_addc_co_u32_e32 v15, vcc, 0, v8, vcc
	v_mad_u64_u32 v[7:8], s[0:1], v6, s7, 0
	v_mad_u64_u32 v[12:13], s[0:1], v6, s6, 0
	v_add_co_u32_e32 v7, vcc, v14, v7
	v_addc_co_u32_e32 v7, vcc, v15, v8, vcc
	v_addc_co_u32_e32 v8, vcc, 0, v13, vcc
	v_add_co_u32_e32 v12, vcc, v7, v12
	v_addc_co_u32_e32 v13, vcc, 0, v8, vcc
	v_mul_lo_u32 v14, s25, v12
	v_mul_lo_u32 v15, s24, v13
	v_mad_u64_u32 v[7:8], s[0:1], s24, v12, 0
	v_add3_u32 v8, v8, v15, v14
	v_sub_u32_e32 v14, v6, v8
	v_mov_b32_e32 v15, s25
	v_sub_co_u32_e32 v5, vcc, v5, v7
	v_subb_co_u32_e64 v7, s[0:1], v14, v15, vcc
	v_subrev_co_u32_e64 v14, s[0:1], s24, v5
	v_subbrev_co_u32_e64 v7, s[0:1], 0, v7, s[0:1]
	v_cmp_le_u32_e64 s[0:1], s25, v7
	v_cndmask_b32_e64 v15, 0, -1, s[0:1]
	v_cmp_le_u32_e64 s[0:1], s24, v14
	v_cndmask_b32_e64 v14, 0, -1, s[0:1]
	v_cmp_eq_u32_e64 s[0:1], s25, v7
	v_cndmask_b32_e64 v7, v15, v14, s[0:1]
	v_add_co_u32_e64 v14, s[0:1], 2, v12
	v_subb_co_u32_e32 v6, vcc, v6, v8, vcc
	v_addc_co_u32_e64 v15, s[0:1], 0, v13, s[0:1]
	v_cmp_le_u32_e32 vcc, s25, v6
	v_add_co_u32_e64 v16, s[0:1], 1, v12
	v_cndmask_b32_e64 v8, 0, -1, vcc
	v_cmp_le_u32_e32 vcc, s24, v5
	v_addc_co_u32_e64 v17, s[0:1], 0, v13, s[0:1]
	v_cndmask_b32_e64 v5, 0, -1, vcc
	v_cmp_eq_u32_e32 vcc, s25, v6
	v_cmp_ne_u32_e64 s[0:1], 0, v7
	v_cndmask_b32_e32 v5, v8, v5, vcc
	v_cndmask_b32_e64 v7, v17, v15, s[0:1]
	v_cmp_ne_u32_e32 vcc, 0, v5
	v_cndmask_b32_e64 v5, v16, v14, s[0:1]
	v_cndmask_b32_e32 v8, v13, v7, vcc
	v_cndmask_b32_e32 v7, v12, v5, vcc
                                        ; implicit-def: $vgpr14
                                        ; implicit-def: $vgpr5_vgpr6
.LBB0_19:
	s_andn2_saveexec_b64 s[0:1], s[2:3]
	s_cbranch_execz .LBB0_21
; %bb.20:
	v_rcp_iflag_f32_e32 v6, v14
	s_sub_i32 s2, 0, s24
	v_mul_f32_e32 v6, 0x4f7ffffe, v6
	v_cvt_u32_f32_e32 v6, v6
	v_mul_lo_u32 v7, s2, v6
	v_mul_hi_u32 v7, v6, v7
	v_add_u32_e32 v6, v6, v7
	v_mul_hi_u32 v6, v5, v6
	v_mul_lo_u32 v7, v6, s24
	v_add_u32_e32 v8, 1, v6
	v_sub_u32_e32 v5, v5, v7
	v_subrev_u32_e32 v7, s24, v5
	v_cmp_le_u32_e32 vcc, s24, v5
	v_cndmask_b32_e32 v5, v5, v7, vcc
	v_cndmask_b32_e32 v6, v6, v8, vcc
	v_add_u32_e32 v7, 1, v6
	v_cmp_le_u32_e32 vcc, s24, v5
	v_cndmask_b32_e32 v7, v6, v7, vcc
	v_mov_b32_e32 v8, 0
.LBB0_21:
	s_or_b64 exec, exec, s[0:1]
	v_or_b32_e32 v6, s21, v8
	v_mov_b32_e32 v5, 0
	v_cmp_ne_u64_e32 vcc, 0, v[5:6]
                                        ; implicit-def: $vgpr5_vgpr6
	s_and_saveexec_b64 s[0:1], vcc
	s_xor_b64 s[2:3], exec, s[0:1]
	s_cbranch_execz .LBB0_23
; %bb.22:
	v_cvt_f32_u32_e32 v5, s20
	v_cvt_f32_u32_e32 v6, s21
	s_sub_u32 s6, 0, s20
	s_subb_u32 s7, 0, s21
	v_madmk_f32 v5, v6, 0x4f800000, v5
	v_rcp_f32_e32 v5, v5
	v_mul_f32_e32 v5, 0x5f7ffffc, v5
	v_mul_f32_e32 v6, 0x2f800000, v5
	v_trunc_f32_e32 v6, v6
	v_madmk_f32 v5, v6, 0xcf800000, v5
	v_cvt_u32_f32_e32 v6, v6
	v_cvt_u32_f32_e32 v5, v5
	v_readfirstlane_b32 s28, v6
	v_readfirstlane_b32 s0, v5
	s_mul_i32 s1, s6, s28
	s_mul_hi_u32 s30, s6, s0
	s_mul_i32 s29, s7, s0
	s_add_i32 s1, s30, s1
	s_mul_i32 s31, s6, s0
	s_add_i32 s1, s1, s29
	s_mul_i32 s30, s0, s1
	s_mul_hi_u32 s33, s0, s31
	s_mul_hi_u32 s29, s0, s1
	s_add_u32 s30, s33, s30
	s_addc_u32 s29, 0, s29
	s_mul_hi_u32 s34, s28, s31
	s_mul_i32 s31, s28, s31
	s_add_u32 s30, s30, s31
	s_mul_hi_u32 s33, s28, s1
	s_addc_u32 s29, s29, s34
	s_addc_u32 s30, s33, 0
	s_mul_i32 s1, s28, s1
	s_add_u32 s1, s29, s1
	s_addc_u32 s29, 0, s30
	s_add_u32 s30, s0, s1
	s_cselect_b64 s[0:1], -1, 0
	s_cmp_lg_u64 s[0:1], 0
	s_addc_u32 s28, s28, s29
	s_mul_i32 s0, s6, s28
	s_mul_hi_u32 s1, s6, s30
	s_add_i32 s0, s1, s0
	s_mul_i32 s7, s7, s30
	s_add_i32 s0, s0, s7
	s_mul_i32 s6, s6, s30
	s_mul_hi_u32 s7, s28, s6
	s_mul_i32 s29, s28, s6
	s_mul_i32 s33, s30, s0
	s_mul_hi_u32 s6, s30, s6
	s_mul_hi_u32 s31, s30, s0
	s_add_u32 s6, s6, s33
	s_addc_u32 s31, 0, s31
	s_add_u32 s6, s6, s29
	s_mul_hi_u32 s1, s28, s0
	s_addc_u32 s6, s31, s7
	s_addc_u32 s1, s1, 0
	s_mul_i32 s0, s28, s0
	s_add_u32 s0, s6, s0
	s_addc_u32 s6, 0, s1
	s_add_u32 s7, s30, s0
	s_cselect_b64 s[0:1], -1, 0
	s_cmp_lg_u64 s[0:1], 0
	s_addc_u32 s6, s28, s6
	v_mad_u64_u32 v[5:6], s[0:1], v7, s6, 0
	v_mul_hi_u32 v12, v7, s7
	v_add_co_u32_e32 v14, vcc, v12, v5
	v_addc_co_u32_e32 v15, vcc, 0, v6, vcc
	v_mad_u64_u32 v[5:6], s[0:1], v8, s7, 0
	v_mad_u64_u32 v[12:13], s[0:1], v8, s6, 0
	v_add_co_u32_e32 v5, vcc, v14, v5
	v_addc_co_u32_e32 v5, vcc, v15, v6, vcc
	v_addc_co_u32_e32 v6, vcc, 0, v13, vcc
	v_add_co_u32_e32 v5, vcc, v5, v12
	v_addc_co_u32_e32 v6, vcc, 0, v6, vcc
	v_mul_lo_u32 v12, s21, v5
	v_mul_lo_u32 v13, s20, v6
	v_mad_u64_u32 v[5:6], s[0:1], s20, v5, 0
	v_add3_u32 v6, v6, v13, v12
	v_sub_u32_e32 v12, v8, v6
	v_mov_b32_e32 v13, s21
	v_sub_co_u32_e32 v5, vcc, v7, v5
	v_subb_co_u32_e64 v7, s[0:1], v12, v13, vcc
	v_subrev_co_u32_e64 v12, s[0:1], s20, v5
	v_subbrev_co_u32_e64 v7, s[0:1], 0, v7, s[0:1]
	v_cmp_le_u32_e64 s[0:1], s21, v7
	v_subb_co_u32_e32 v6, vcc, v8, v6, vcc
	v_cndmask_b32_e64 v13, 0, -1, s[0:1]
	v_cmp_le_u32_e64 s[0:1], s20, v12
	v_cmp_le_u32_e32 vcc, s21, v6
	v_cndmask_b32_e64 v14, 0, -1, s[0:1]
	v_cmp_eq_u32_e64 s[0:1], s21, v7
	v_cndmask_b32_e64 v8, 0, -1, vcc
	v_cmp_le_u32_e32 vcc, s20, v5
	v_cndmask_b32_e64 v7, v13, v14, s[0:1]
	v_cndmask_b32_e64 v14, 0, -1, vcc
	v_cmp_eq_u32_e32 vcc, s21, v6
	v_subrev_co_u32_e64 v13, s[0:1], s20, v12
	v_cndmask_b32_e32 v6, v8, v14, vcc
	v_cmp_ne_u32_e32 vcc, 0, v7
	v_cndmask_b32_e32 v7, v12, v13, vcc
	v_cmp_ne_u32_e32 vcc, 0, v6
	v_cndmask_b32_e32 v5, v5, v7, vcc
                                        ; implicit-def: $vgpr7_vgpr8
.LBB0_23:
	s_andn2_saveexec_b64 s[0:1], s[2:3]
	s_cbranch_execz .LBB0_25
; %bb.24:
	v_cvt_f32_u32_e32 v5, s20
	s_sub_i32 s2, 0, s20
	v_rcp_iflag_f32_e32 v5, v5
	v_mul_f32_e32 v5, 0x4f7ffffe, v5
	v_cvt_u32_f32_e32 v5, v5
	v_mul_lo_u32 v6, s2, v5
	v_mul_hi_u32 v6, v5, v6
	v_add_u32_e32 v5, v5, v6
	v_mul_hi_u32 v5, v7, v5
	v_mul_lo_u32 v5, v5, s20
	v_sub_u32_e32 v5, v7, v5
	v_subrev_u32_e32 v6, s20, v5
	v_cmp_le_u32_e32 vcc, s20, v5
	v_cndmask_b32_e32 v5, v5, v6, vcc
	v_subrev_u32_e32 v6, s20, v5
	v_cmp_le_u32_e32 vcc, s20, v5
	v_cndmask_b32_e32 v5, v5, v6, vcc
.LBB0_25:
	s_or_b64 exec, exec, s[0:1]
	v_or_b32_e32 v7, s23, v4
	v_mov_b32_e32 v6, 0
	v_cmp_ne_u64_e32 vcc, 0, v[6:7]
                                        ; implicit-def: $vgpr6_vgpr7
	s_and_saveexec_b64 s[0:1], vcc
	s_xor_b64 s[2:3], exec, s[0:1]
	s_cbranch_execz .LBB0_27
; %bb.26:
	v_madmk_f32 v6, v10, 0x4f800000, v9
	v_rcp_f32_e32 v6, v6
	s_sub_u32 s6, 0, s22
	s_subb_u32 s7, 0, s23
	v_mul_f32_e32 v6, 0x5f7ffffc, v6
	v_mul_f32_e32 v7, 0x2f800000, v6
	v_trunc_f32_e32 v7, v7
	v_madmk_f32 v6, v7, 0xcf800000, v6
	v_cvt_u32_f32_e32 v7, v7
	v_cvt_u32_f32_e32 v6, v6
	v_readfirstlane_b32 s28, v7
	v_readfirstlane_b32 s0, v6
	s_mul_i32 s1, s6, s28
	s_mul_hi_u32 s30, s6, s0
	s_mul_i32 s29, s7, s0
	s_add_i32 s1, s30, s1
	s_add_i32 s1, s1, s29
	s_mul_i32 s31, s6, s0
	s_mul_i32 s30, s0, s1
	s_mul_hi_u32 s33, s0, s31
	s_mul_hi_u32 s29, s0, s1
	s_add_u32 s30, s33, s30
	s_addc_u32 s29, 0, s29
	s_mul_hi_u32 s34, s28, s31
	s_mul_i32 s31, s28, s31
	s_add_u32 s30, s30, s31
	s_mul_hi_u32 s33, s28, s1
	s_addc_u32 s29, s29, s34
	s_addc_u32 s30, s33, 0
	s_mul_i32 s1, s28, s1
	s_add_u32 s1, s29, s1
	s_addc_u32 s29, 0, s30
	s_add_u32 s30, s0, s1
	s_cselect_b64 s[0:1], -1, 0
	s_cmp_lg_u64 s[0:1], 0
	s_addc_u32 s28, s28, s29
	s_mul_i32 s0, s6, s28
	s_mul_hi_u32 s1, s6, s30
	s_add_i32 s0, s1, s0
	s_mul_i32 s7, s7, s30
	s_add_i32 s0, s0, s7
	s_mul_i32 s6, s6, s30
	s_mul_hi_u32 s7, s28, s6
	s_mul_i32 s29, s28, s6
	s_mul_i32 s33, s30, s0
	s_mul_hi_u32 s6, s30, s6
	s_mul_hi_u32 s31, s30, s0
	s_add_u32 s6, s6, s33
	s_addc_u32 s31, 0, s31
	s_add_u32 s6, s6, s29
	s_mul_hi_u32 s1, s28, s0
	s_addc_u32 s6, s31, s7
	s_addc_u32 s1, s1, 0
	s_mul_i32 s0, s28, s0
	s_add_u32 s0, s6, s0
	s_addc_u32 s6, 0, s1
	s_add_u32 s7, s30, s0
	s_cselect_b64 s[0:1], -1, 0
	s_cmp_lg_u64 s[0:1], 0
	s_addc_u32 s6, s28, s6
	v_mad_u64_u32 v[6:7], s[0:1], v3, s6, 0
	v_mul_hi_u32 v8, v3, s7
	v_add_co_u32_e32 v10, vcc, v8, v6
	v_addc_co_u32_e32 v11, vcc, 0, v7, vcc
	v_mad_u64_u32 v[6:7], s[0:1], v4, s7, 0
	v_mad_u64_u32 v[8:9], s[0:1], v4, s6, 0
	v_add_co_u32_e32 v6, vcc, v10, v6
	v_addc_co_u32_e32 v6, vcc, v11, v7, vcc
	v_addc_co_u32_e32 v7, vcc, 0, v9, vcc
	v_add_co_u32_e32 v6, vcc, v6, v8
	v_addc_co_u32_e32 v7, vcc, 0, v7, vcc
	v_mul_lo_u32 v8, s23, v6
	v_mul_lo_u32 v9, s22, v7
	v_mad_u64_u32 v[6:7], s[0:1], s22, v6, 0
	v_add3_u32 v7, v7, v9, v8
	v_sub_u32_e32 v8, v4, v7
	v_mov_b32_e32 v9, s23
	v_sub_co_u32_e32 v6, vcc, v3, v6
	v_subb_co_u32_e64 v8, s[0:1], v8, v9, vcc
	v_subrev_co_u32_e64 v9, s[0:1], s22, v6
	v_subbrev_co_u32_e64 v8, s[0:1], 0, v8, s[0:1]
	v_cmp_le_u32_e64 s[0:1], s23, v8
	v_subb_co_u32_e32 v4, vcc, v4, v7, vcc
	v_cndmask_b32_e64 v10, 0, -1, s[0:1]
	v_cmp_le_u32_e64 s[0:1], s22, v9
	v_cmp_le_u32_e32 vcc, s23, v4
	v_cndmask_b32_e64 v11, 0, -1, s[0:1]
	v_cmp_eq_u32_e64 s[0:1], s23, v8
	v_cndmask_b32_e64 v7, 0, -1, vcc
	v_cmp_le_u32_e32 vcc, s22, v6
	v_cndmask_b32_e64 v8, v10, v11, s[0:1]
	v_cndmask_b32_e64 v11, 0, -1, vcc
	v_cmp_eq_u32_e32 vcc, s23, v4
	v_subrev_co_u32_e64 v10, s[0:1], s22, v9
	v_cndmask_b32_e32 v4, v7, v11, vcc
	v_cmp_ne_u32_e32 vcc, 0, v8
	v_cndmask_b32_e32 v7, v9, v10, vcc
	v_cmp_ne_u32_e32 vcc, 0, v4
	v_cndmask_b32_e32 v6, v6, v7, vcc
                                        ; implicit-def: $vgpr11
.LBB0_27:
	s_andn2_saveexec_b64 s[0:1], s[2:3]
	s_cbranch_execz .LBB0_29
; %bb.28:
	v_rcp_iflag_f32_e32 v4, v11
	s_sub_i32 s2, 0, s22
	v_mul_f32_e32 v4, 0x4f7ffffe, v4
	v_cvt_u32_f32_e32 v4, v4
	v_mul_lo_u32 v6, s2, v4
	v_mul_hi_u32 v6, v4, v6
	v_add_u32_e32 v4, v4, v6
	v_mul_hi_u32 v4, v3, v4
	v_mul_lo_u32 v4, v4, s22
	v_sub_u32_e32 v4, v3, v4
	v_subrev_u32_e32 v6, s22, v4
	v_cmp_le_u32_e32 vcc, s22, v4
	v_cndmask_b32_e32 v4, v4, v6, vcc
	v_subrev_u32_e32 v6, s22, v4
	v_cmp_le_u32_e32 vcc, s22, v4
	v_cndmask_b32_e32 v6, v4, v6, vcc
.LBB0_29:
	s_or_b64 exec, exec, s[0:1]
	s_load_dwordx4 s[0:3], s[4:5], 0x50
	v_mul_lo_u32 v3, v3, s24
	v_cvt_f32_i32_e32 v4, v5
	v_cvt_f32_i32_e32 v6, v6
	s_waitcnt lgkmcnt(0)
	s_add_i32 s3, s14, -1
	v_sub_u32_e32 v3, v0, v3
	v_mul_f32_e32 v4, s0, v4
	v_cvt_f32_i32_e32 v3, v3
	v_floor_f32_e32 v4, v4
	v_cvt_i32_f32_e32 v4, v4
	s_mul_i32 s4, s18, s17
	v_mul_f32_e32 v3, s2, v3
	s_mul_hi_u32 s0, s18, s16
	v_floor_f32_e32 v3, v3
	s_mul_i32 s5, s19, s16
	s_add_i32 s0, s0, s4
	v_min_i32_e32 v7, s3, v4
	s_mul_i32 s3, s18, s16
	v_cvt_i32_f32_e32 v3, v3
	s_add_i32 s0, s0, s5
	s_mul_i32 s4, s3, s15
	s_mul_hi_u32 s5, s3, s14
	s_add_i32 s4, s5, s4
	s_mul_i32 s0, s0, s14
	v_mul_f32_e32 v6, s1, v6
	s_add_i32 s4, s4, s0
	s_add_i32 s0, s18, -1
	v_floor_f32_e32 v6, v6
	v_min_i32_e32 v3, s0, v3
	v_cvt_i32_f32_e32 v6, v6
	s_mul_i32 s2, s3, s14
	v_ashrrev_i32_e32 v4, 31, v3
	v_ashrrev_i32_e32 v5, 31, v2
	v_mul_lo_u32 v9, v2, s4
	v_mad_u64_u32 v[2:3], s[0:1], v2, s2, v[3:4]
	s_add_i32 s0, s16, -1
	v_min_i32_e32 v4, s0, v6
	v_mul_lo_u32 v10, v5, s2
	v_ashrrev_i32_e32 v5, 31, v4
	v_mad_u64_u32 v[4:5], s[0:1], s16, v7, v[4:5]
	v_add3_u32 v3, v10, v3, v9
	v_ashrrev_i32_e32 v8, 31, v7
	v_mad_u64_u32 v[2:3], s[0:1], v4, s18, v[2:3]
	s_mul_i32 s0, s2, s13
	s_mul_hi_u32 s1, s2, s12
	s_mul_i32 s4, s4, s12
	s_add_i32 s0, s1, s0
	v_mul_lo_u32 v6, s16, v8
	v_mul_lo_u32 v7, s17, v7
	s_add_i32 s7, s0, s4
	s_mul_i32 s0, s24, s23
	s_mul_hi_u32 s1, s24, s22
	s_add_i32 s0, s1, s0
	s_mul_i32 s1, s25, s22
	s_add_i32 s0, s0, s1
	s_mul_i32 s1, s24, s22
	s_mul_i32 s6, s2, s12
	s_mul_i32 s2, s1, s21
	s_mul_hi_u32 s3, s1, s20
	v_add3_u32 v5, v7, v5, v6
	s_add_i32 s2, s3, s2
	s_mul_i32 s0, s0, s20
	v_mul_lo_u32 v5, v5, s18
	v_mul_lo_u32 v4, v4, s19
	s_add_i32 s0, s2, s0
	s_mul_i32 s2, s1, s20
	s_mul_i32 s1, s2, s13
	s_mul_hi_u32 s3, s2, s12
	v_lshlrev_b64 v[0:1], 3, v[0:1]
	s_mul_i32 s0, s0, s12
	s_add_i32 s1, s3, s1
	s_add_i32 s1, s1, s0
	s_mul_i32 s0, s2, s12
	v_add3_u32 v3, v5, v3, v4
	v_mov_b32_e32 v4, s27
	v_add_co_u32_e32 v0, vcc, s26, v0
	s_lshl_b64 s[2:3], s[0:1], 3
	v_addc_co_u32_e32 v1, vcc, v4, v1, vcc
	s_mov_b64 s[4:5], 0
	v_mov_b32_e32 v4, s9
	v_mov_b32_e32 v5, s7
	;; [unrolled: 1-line block ×3, first 2 shown]
.LBB0_30:                               ; =>This Inner Loop Header: Depth=1
	v_lshlrev_b64 v[7:8], 3, v[2:3]
	s_add_u32 s4, s4, 1
	v_add_co_u32_e32 v7, vcc, s8, v7
	v_addc_co_u32_e32 v8, vcc, v4, v8, vcc
	global_load_dwordx2 v[7:8], v[7:8], off
	s_addc_u32 s5, s5, 0
	v_add_co_u32_e32 v2, vcc, s6, v2
	v_mov_b32_e32 v10, s5
	v_addc_co_u32_e32 v3, vcc, v3, v5, vcc
	v_mov_b32_e32 v9, s4
	v_cmp_gt_u64_e32 vcc, s[10:11], v[9:10]
	s_and_b64 vcc, exec, vcc
	s_waitcnt vmcnt(0)
	global_store_dwordx2 v[0:1], v[7:8], off
	v_add_co_u32_e64 v0, s[0:1], s2, v0
	v_addc_co_u32_e64 v1, s[0:1], v1, v6, s[0:1]
	s_cbranch_vccnz .LBB0_30
.LBB0_31:
	s_endpgm
	.section	.rodata,"a",@progbits
	.p2align	6, 0x0
	.amdhsa_kernel _ZN2at6native12_GLOBAL__N_128upsample_nearest3d_out_frameIdXadL_ZNS0_37nearest_neighbor_compute_source_indexEfiiEEEEvPKT_mmmmmmmmPS3_fff
		.amdhsa_group_segment_fixed_size 0
		.amdhsa_private_segment_fixed_size 0
		.amdhsa_kernarg_size 352
		.amdhsa_user_sgpr_count 6
		.amdhsa_user_sgpr_private_segment_buffer 1
		.amdhsa_user_sgpr_dispatch_ptr 0
		.amdhsa_user_sgpr_queue_ptr 0
		.amdhsa_user_sgpr_kernarg_segment_ptr 1
		.amdhsa_user_sgpr_dispatch_id 0
		.amdhsa_user_sgpr_flat_scratch_init 0
		.amdhsa_user_sgpr_private_segment_size 0
		.amdhsa_uses_dynamic_stack 0
		.amdhsa_system_sgpr_private_segment_wavefront_offset 0
		.amdhsa_system_sgpr_workgroup_id_x 1
		.amdhsa_system_sgpr_workgroup_id_y 0
		.amdhsa_system_sgpr_workgroup_id_z 0
		.amdhsa_system_sgpr_workgroup_info 0
		.amdhsa_system_vgpr_workitem_id 0
		.amdhsa_next_free_vgpr 19
		.amdhsa_next_free_sgpr 39
		.amdhsa_reserve_vcc 1
		.amdhsa_reserve_flat_scratch 0
		.amdhsa_float_round_mode_32 0
		.amdhsa_float_round_mode_16_64 0
		.amdhsa_float_denorm_mode_32 3
		.amdhsa_float_denorm_mode_16_64 3
		.amdhsa_dx10_clamp 1
		.amdhsa_ieee_mode 1
		.amdhsa_fp16_overflow 0
		.amdhsa_exception_fp_ieee_invalid_op 0
		.amdhsa_exception_fp_denorm_src 0
		.amdhsa_exception_fp_ieee_div_zero 0
		.amdhsa_exception_fp_ieee_overflow 0
		.amdhsa_exception_fp_ieee_underflow 0
		.amdhsa_exception_fp_ieee_inexact 0
		.amdhsa_exception_int_div_zero 0
	.end_amdhsa_kernel
	.section	.text._ZN2at6native12_GLOBAL__N_128upsample_nearest3d_out_frameIdXadL_ZNS0_37nearest_neighbor_compute_source_indexEfiiEEEEvPKT_mmmmmmmmPS3_fff,"axG",@progbits,_ZN2at6native12_GLOBAL__N_128upsample_nearest3d_out_frameIdXadL_ZNS0_37nearest_neighbor_compute_source_indexEfiiEEEEvPKT_mmmmmmmmPS3_fff,comdat
.Lfunc_end0:
	.size	_ZN2at6native12_GLOBAL__N_128upsample_nearest3d_out_frameIdXadL_ZNS0_37nearest_neighbor_compute_source_indexEfiiEEEEvPKT_mmmmmmmmPS3_fff, .Lfunc_end0-_ZN2at6native12_GLOBAL__N_128upsample_nearest3d_out_frameIdXadL_ZNS0_37nearest_neighbor_compute_source_indexEfiiEEEEvPKT_mmmmmmmmPS3_fff
                                        ; -- End function
	.set _ZN2at6native12_GLOBAL__N_128upsample_nearest3d_out_frameIdXadL_ZNS0_37nearest_neighbor_compute_source_indexEfiiEEEEvPKT_mmmmmmmmPS3_fff.num_vgpr, 19
	.set _ZN2at6native12_GLOBAL__N_128upsample_nearest3d_out_frameIdXadL_ZNS0_37nearest_neighbor_compute_source_indexEfiiEEEEvPKT_mmmmmmmmPS3_fff.num_agpr, 0
	.set _ZN2at6native12_GLOBAL__N_128upsample_nearest3d_out_frameIdXadL_ZNS0_37nearest_neighbor_compute_source_indexEfiiEEEEvPKT_mmmmmmmmPS3_fff.numbered_sgpr, 39
	.set _ZN2at6native12_GLOBAL__N_128upsample_nearest3d_out_frameIdXadL_ZNS0_37nearest_neighbor_compute_source_indexEfiiEEEEvPKT_mmmmmmmmPS3_fff.num_named_barrier, 0
	.set _ZN2at6native12_GLOBAL__N_128upsample_nearest3d_out_frameIdXadL_ZNS0_37nearest_neighbor_compute_source_indexEfiiEEEEvPKT_mmmmmmmmPS3_fff.private_seg_size, 0
	.set _ZN2at6native12_GLOBAL__N_128upsample_nearest3d_out_frameIdXadL_ZNS0_37nearest_neighbor_compute_source_indexEfiiEEEEvPKT_mmmmmmmmPS3_fff.uses_vcc, 1
	.set _ZN2at6native12_GLOBAL__N_128upsample_nearest3d_out_frameIdXadL_ZNS0_37nearest_neighbor_compute_source_indexEfiiEEEEvPKT_mmmmmmmmPS3_fff.uses_flat_scratch, 0
	.set _ZN2at6native12_GLOBAL__N_128upsample_nearest3d_out_frameIdXadL_ZNS0_37nearest_neighbor_compute_source_indexEfiiEEEEvPKT_mmmmmmmmPS3_fff.has_dyn_sized_stack, 0
	.set _ZN2at6native12_GLOBAL__N_128upsample_nearest3d_out_frameIdXadL_ZNS0_37nearest_neighbor_compute_source_indexEfiiEEEEvPKT_mmmmmmmmPS3_fff.has_recursion, 0
	.set _ZN2at6native12_GLOBAL__N_128upsample_nearest3d_out_frameIdXadL_ZNS0_37nearest_neighbor_compute_source_indexEfiiEEEEvPKT_mmmmmmmmPS3_fff.has_indirect_call, 0
	.section	.AMDGPU.csdata,"",@progbits
; Kernel info:
; codeLenInByte = 5348
; TotalNumSgprs: 43
; NumVgprs: 19
; ScratchSize: 0
; MemoryBound: 0
; FloatMode: 240
; IeeeMode: 1
; LDSByteSize: 0 bytes/workgroup (compile time only)
; SGPRBlocks: 5
; VGPRBlocks: 4
; NumSGPRsForWavesPerEU: 43
; NumVGPRsForWavesPerEU: 19
; Occupancy: 10
; WaveLimiterHint : 0
; COMPUTE_PGM_RSRC2:SCRATCH_EN: 0
; COMPUTE_PGM_RSRC2:USER_SGPR: 6
; COMPUTE_PGM_RSRC2:TRAP_HANDLER: 0
; COMPUTE_PGM_RSRC2:TGID_X_EN: 1
; COMPUTE_PGM_RSRC2:TGID_Y_EN: 0
; COMPUTE_PGM_RSRC2:TGID_Z_EN: 0
; COMPUTE_PGM_RSRC2:TIDIG_COMP_CNT: 0
	.section	.text._ZN2at6native12_GLOBAL__N_128upsample_nearest3d_out_frameIfXadL_ZNS0_37nearest_neighbor_compute_source_indexEfiiEEEEvPKT_mmmmmmmmPS3_fff,"axG",@progbits,_ZN2at6native12_GLOBAL__N_128upsample_nearest3d_out_frameIfXadL_ZNS0_37nearest_neighbor_compute_source_indexEfiiEEEEvPKT_mmmmmmmmPS3_fff,comdat
	.globl	_ZN2at6native12_GLOBAL__N_128upsample_nearest3d_out_frameIfXadL_ZNS0_37nearest_neighbor_compute_source_indexEfiiEEEEvPKT_mmmmmmmmPS3_fff ; -- Begin function _ZN2at6native12_GLOBAL__N_128upsample_nearest3d_out_frameIfXadL_ZNS0_37nearest_neighbor_compute_source_indexEfiiEEEEvPKT_mmmmmmmmPS3_fff
	.p2align	8
	.type	_ZN2at6native12_GLOBAL__N_128upsample_nearest3d_out_frameIfXadL_ZNS0_37nearest_neighbor_compute_source_indexEfiiEEEEvPKT_mmmmmmmmPS3_fff,@function
_ZN2at6native12_GLOBAL__N_128upsample_nearest3d_out_frameIfXadL_ZNS0_37nearest_neighbor_compute_source_indexEfiiEEEEvPKT_mmmmmmmmPS3_fff: ; @_ZN2at6native12_GLOBAL__N_128upsample_nearest3d_out_frameIfXadL_ZNS0_37nearest_neighbor_compute_source_indexEfiiEEEEvPKT_mmmmmmmmPS3_fff
; %bb.0:
	s_load_dword s0, s[4:5], 0x6c
	s_load_dwordx4 s[24:27], s[4:5], 0x40
	s_load_dwordx16 s[8:23], s[4:5], 0x0
	v_mov_b32_e32 v2, 0
	v_mov_b32_e32 v1, v2
	s_waitcnt lgkmcnt(0)
	s_and_b32 s0, s0, 0xffff
	v_mov_b32_e32 v3, s6
	v_mad_u64_u32 v[0:1], s[0:1], s0, v3, v[0:1]
	s_mul_i32 s0, s22, s21
	s_mul_hi_u32 s1, s22, s20
	s_add_i32 s1, s1, s0
	s_mul_i32 s0, s23, s20
	s_add_i32 s1, s1, s0
	s_mul_i32 s0, s22, s20
	s_mul_i32 s2, s0, s13
	s_mul_hi_u32 s3, s0, s12
	s_add_i32 s2, s3, s2
	s_mul_i32 s3, s1, s12
	s_mul_i32 s6, s0, s12
	s_add_i32 s2, s2, s3
	s_mul_i32 s3, s6, s25
	s_mul_hi_u32 s7, s6, s24
	s_mul_i32 s2, s2, s24
	s_add_i32 s3, s7, s3
	s_add_i32 s3, s3, s2
	s_mul_i32 s2, s6, s24
	v_cmp_gt_u64_e32 vcc, s[2:3], v[0:1]
	s_cmp_lg_u64 s[10:11], 0
	s_cselect_b64 s[2:3], -1, 0
	s_and_b64 s[2:3], vcc, s[2:3]
	s_and_saveexec_b64 s[6:7], s[2:3]
	s_cbranch_execz .LBB1_31
; %bb.1:
	s_mul_i32 s2, s0, s25
	s_mul_hi_u32 s3, s0, s24
	s_add_i32 s2, s3, s2
	s_mul_i32 s1, s1, s24
	s_add_i32 s1, s2, s1
	v_or_b32_e32 v3, s1, v1
	v_cmp_ne_u64_e32 vcc, 0, v[2:3]
	s_mul_i32 s30, s0, s24
                                        ; implicit-def: $vgpr4_vgpr5
	s_and_saveexec_b64 s[2:3], vcc
	s_xor_b64 s[2:3], exec, s[2:3]
	s_cbranch_execz .LBB1_3
; %bb.2:
	s_ashr_i32 s6, s1, 31
	s_add_u32 s0, s30, s6
	s_mov_b32 s7, s6
	s_addc_u32 s1, s1, s6
	s_xor_b64 s[28:29], s[0:1], s[6:7]
	v_cvt_f32_u32_e32 v2, s28
	v_cvt_f32_u32_e32 v3, s29
	s_sub_u32 s7, 0, s28
	s_subb_u32 s31, 0, s29
	v_ashrrev_i32_e32 v6, 31, v1
	v_madmk_f32 v2, v3, 0x4f800000, v2
	v_rcp_f32_e32 v2, v2
	v_mul_f32_e32 v2, 0x5f7ffffc, v2
	v_mul_f32_e32 v3, 0x2f800000, v2
	v_trunc_f32_e32 v3, v3
	v_madmk_f32 v2, v3, 0xcf800000, v2
	v_cvt_u32_f32_e32 v3, v3
	v_cvt_u32_f32_e32 v2, v2
	v_readfirstlane_b32 s33, v3
	v_readfirstlane_b32 s0, v2
	s_mul_i32 s1, s7, s33
	s_mul_hi_u32 s35, s7, s0
	s_mul_i32 s34, s31, s0
	s_add_i32 s1, s35, s1
	s_add_i32 s1, s1, s34
	s_mul_i32 s36, s7, s0
	s_mul_i32 s35, s0, s1
	s_mul_hi_u32 s37, s0, s36
	s_mul_hi_u32 s34, s0, s1
	s_add_u32 s35, s37, s35
	s_addc_u32 s34, 0, s34
	s_mul_hi_u32 s38, s33, s36
	s_mul_i32 s36, s33, s36
	s_add_u32 s35, s35, s36
	s_mul_hi_u32 s37, s33, s1
	s_addc_u32 s34, s34, s38
	s_addc_u32 s35, s37, 0
	s_mul_i32 s1, s33, s1
	s_add_u32 s1, s34, s1
	s_addc_u32 s34, 0, s35
	s_add_u32 s35, s0, s1
	s_cselect_b64 s[0:1], -1, 0
	s_cmp_lg_u64 s[0:1], 0
	s_addc_u32 s33, s33, s34
	s_mul_i32 s0, s7, s33
	s_mul_hi_u32 s1, s7, s35
	s_add_i32 s0, s1, s0
	s_mul_i32 s31, s31, s35
	s_add_i32 s0, s0, s31
	s_mul_i32 s7, s7, s35
	s_mul_hi_u32 s31, s33, s7
	s_mul_i32 s34, s33, s7
	s_mul_i32 s37, s35, s0
	s_mul_hi_u32 s7, s35, s7
	s_mul_hi_u32 s36, s35, s0
	s_add_u32 s7, s7, s37
	s_addc_u32 s36, 0, s36
	s_add_u32 s7, s7, s34
	s_mul_hi_u32 s1, s33, s0
	s_addc_u32 s7, s36, s31
	s_addc_u32 s1, s1, 0
	s_mul_i32 s0, s33, s0
	s_add_u32 s0, s7, s0
	s_addc_u32 s7, 0, s1
	s_add_u32 s31, s35, s0
	s_cselect_b64 s[0:1], -1, 0
	s_cmp_lg_u64 s[0:1], 0
	v_add_co_u32_e32 v2, vcc, v0, v6
	s_addc_u32 s7, s33, s7
	v_xor_b32_e32 v7, v2, v6
	v_mad_u64_u32 v[2:3], s[0:1], v7, s7, 0
	v_mul_hi_u32 v5, v7, s31
	v_addc_co_u32_e32 v4, vcc, v1, v6, vcc
	v_xor_b32_e32 v8, v4, v6
	v_add_co_u32_e32 v9, vcc, v5, v2
	v_addc_co_u32_e32 v10, vcc, 0, v3, vcc
	v_mad_u64_u32 v[2:3], s[0:1], v8, s31, 0
	v_mad_u64_u32 v[4:5], s[0:1], v8, s7, 0
	v_add_co_u32_e32 v2, vcc, v9, v2
	v_addc_co_u32_e32 v2, vcc, v10, v3, vcc
	v_addc_co_u32_e32 v3, vcc, 0, v5, vcc
	v_add_co_u32_e32 v4, vcc, v2, v4
	v_addc_co_u32_e32 v5, vcc, 0, v3, vcc
	v_mul_lo_u32 v9, s29, v4
	v_mul_lo_u32 v10, s28, v5
	v_mad_u64_u32 v[2:3], s[0:1], s28, v4, 0
	v_add3_u32 v3, v3, v10, v9
	v_sub_u32_e32 v9, v8, v3
	v_mov_b32_e32 v10, s29
	v_sub_co_u32_e32 v2, vcc, v7, v2
	v_subb_co_u32_e64 v7, s[0:1], v9, v10, vcc
	v_subrev_co_u32_e64 v9, s[0:1], s28, v2
	v_subbrev_co_u32_e64 v7, s[0:1], 0, v7, s[0:1]
	v_cmp_le_u32_e64 s[0:1], s29, v7
	v_cndmask_b32_e64 v10, 0, -1, s[0:1]
	v_cmp_le_u32_e64 s[0:1], s28, v9
	v_cndmask_b32_e64 v9, 0, -1, s[0:1]
	v_cmp_eq_u32_e64 s[0:1], s29, v7
	v_cndmask_b32_e64 v7, v10, v9, s[0:1]
	v_add_co_u32_e64 v9, s[0:1], 2, v4
	v_subb_co_u32_e32 v3, vcc, v8, v3, vcc
	v_addc_co_u32_e64 v10, s[0:1], 0, v5, s[0:1]
	v_cmp_le_u32_e32 vcc, s29, v3
	v_add_co_u32_e64 v11, s[0:1], 1, v4
	v_cndmask_b32_e64 v8, 0, -1, vcc
	v_cmp_le_u32_e32 vcc, s28, v2
	v_addc_co_u32_e64 v12, s[0:1], 0, v5, s[0:1]
	v_cndmask_b32_e64 v2, 0, -1, vcc
	v_cmp_eq_u32_e32 vcc, s29, v3
	v_cmp_ne_u32_e64 s[0:1], 0, v7
	v_cndmask_b32_e32 v2, v8, v2, vcc
	v_cndmask_b32_e64 v7, v12, v10, s[0:1]
	v_cmp_ne_u32_e32 vcc, 0, v2
	v_cndmask_b32_e64 v3, v11, v9, s[0:1]
	v_cndmask_b32_e32 v2, v5, v7, vcc
	v_cndmask_b32_e32 v3, v4, v3, vcc
	v_xor_b32_e32 v5, s6, v6
	v_xor_b32_e32 v3, v3, v5
	;; [unrolled: 1-line block ×3, first 2 shown]
	v_sub_co_u32_e32 v4, vcc, v3, v5
	v_subb_co_u32_e32 v5, vcc, v2, v5, vcc
.LBB1_3:
	s_andn2_saveexec_b64 s[0:1], s[2:3]
	s_cbranch_execz .LBB1_5
; %bb.4:
	v_cvt_f32_u32_e32 v2, s30
	s_sub_i32 s2, 0, s30
	v_rcp_iflag_f32_e32 v2, v2
	v_mul_f32_e32 v2, 0x4f7ffffe, v2
	v_cvt_u32_f32_e32 v2, v2
	v_mul_lo_u32 v3, s2, v2
	v_mul_hi_u32 v3, v2, v3
	v_add_u32_e32 v2, v2, v3
	v_mul_hi_u32 v2, v0, v2
	v_mul_lo_u32 v3, v2, s30
	v_add_u32_e32 v4, 1, v2
	v_sub_u32_e32 v3, v0, v3
	v_subrev_u32_e32 v5, s30, v3
	v_cmp_le_u32_e32 vcc, s30, v3
	v_cndmask_b32_e32 v3, v3, v5, vcc
	v_cndmask_b32_e32 v2, v2, v4, vcc
	v_add_u32_e32 v4, 1, v2
	v_cmp_le_u32_e32 vcc, s30, v3
	v_cndmask_b32_e32 v4, v2, v4, vcc
	v_mov_b32_e32 v5, 0
.LBB1_5:
	s_or_b64 exec, exec, s[0:1]
	v_or_b32_e32 v3, s13, v5
	v_mov_b32_e32 v2, 0
	v_cmp_ne_u64_e32 vcc, 0, v[2:3]
                                        ; implicit-def: $vgpr2_vgpr3
	s_and_saveexec_b64 s[0:1], vcc
	s_xor_b64 s[2:3], exec, s[0:1]
	s_cbranch_execz .LBB1_7
; %bb.6:
	v_cvt_f32_u32_e32 v2, s12
	v_cvt_f32_u32_e32 v3, s13
	s_sub_u32 s6, 0, s12
	s_subb_u32 s7, 0, s13
	v_madmk_f32 v2, v3, 0x4f800000, v2
	v_rcp_f32_e32 v2, v2
	v_mul_f32_e32 v2, 0x5f7ffffc, v2
	v_mul_f32_e32 v3, 0x2f800000, v2
	v_trunc_f32_e32 v3, v3
	v_madmk_f32 v2, v3, 0xcf800000, v2
	v_cvt_u32_f32_e32 v3, v3
	v_cvt_u32_f32_e32 v2, v2
	v_readfirstlane_b32 s28, v3
	v_readfirstlane_b32 s0, v2
	s_mul_i32 s1, s6, s28
	s_mul_hi_u32 s30, s6, s0
	s_mul_i32 s29, s7, s0
	s_add_i32 s1, s30, s1
	s_mul_i32 s31, s6, s0
	s_add_i32 s1, s1, s29
	s_mul_i32 s30, s0, s1
	s_mul_hi_u32 s33, s0, s31
	s_mul_hi_u32 s29, s0, s1
	s_add_u32 s30, s33, s30
	s_addc_u32 s29, 0, s29
	s_mul_hi_u32 s34, s28, s31
	s_mul_i32 s31, s28, s31
	s_add_u32 s30, s30, s31
	s_mul_hi_u32 s33, s28, s1
	s_addc_u32 s29, s29, s34
	s_addc_u32 s30, s33, 0
	s_mul_i32 s1, s28, s1
	s_add_u32 s1, s29, s1
	s_addc_u32 s29, 0, s30
	s_add_u32 s30, s0, s1
	s_cselect_b64 s[0:1], -1, 0
	s_cmp_lg_u64 s[0:1], 0
	s_addc_u32 s28, s28, s29
	s_mul_i32 s0, s6, s28
	s_mul_hi_u32 s1, s6, s30
	s_add_i32 s0, s1, s0
	s_mul_i32 s7, s7, s30
	s_add_i32 s0, s0, s7
	s_mul_i32 s6, s6, s30
	s_mul_hi_u32 s7, s28, s6
	s_mul_i32 s29, s28, s6
	s_mul_i32 s33, s30, s0
	s_mul_hi_u32 s6, s30, s6
	s_mul_hi_u32 s31, s30, s0
	s_add_u32 s6, s6, s33
	s_addc_u32 s31, 0, s31
	s_add_u32 s6, s6, s29
	s_mul_hi_u32 s1, s28, s0
	s_addc_u32 s6, s31, s7
	s_addc_u32 s1, s1, 0
	s_mul_i32 s0, s28, s0
	s_add_u32 s0, s6, s0
	s_addc_u32 s6, 0, s1
	s_add_u32 s7, s30, s0
	s_cselect_b64 s[0:1], -1, 0
	s_cmp_lg_u64 s[0:1], 0
	s_addc_u32 s6, s28, s6
	v_mad_u64_u32 v[2:3], s[0:1], v4, s6, 0
	v_mul_hi_u32 v6, v4, s7
	v_add_co_u32_e32 v8, vcc, v6, v2
	v_addc_co_u32_e32 v9, vcc, 0, v3, vcc
	v_mad_u64_u32 v[2:3], s[0:1], v5, s7, 0
	v_mad_u64_u32 v[6:7], s[0:1], v5, s6, 0
	v_add_co_u32_e32 v2, vcc, v8, v2
	v_addc_co_u32_e32 v2, vcc, v9, v3, vcc
	v_addc_co_u32_e32 v3, vcc, 0, v7, vcc
	v_add_co_u32_e32 v2, vcc, v2, v6
	v_addc_co_u32_e32 v3, vcc, 0, v3, vcc
	v_mul_lo_u32 v6, s13, v2
	v_mul_lo_u32 v7, s12, v3
	v_mad_u64_u32 v[2:3], s[0:1], s12, v2, 0
	v_add3_u32 v3, v3, v7, v6
	v_sub_u32_e32 v6, v5, v3
	v_mov_b32_e32 v7, s13
	v_sub_co_u32_e32 v2, vcc, v4, v2
	v_subb_co_u32_e64 v4, s[0:1], v6, v7, vcc
	v_subrev_co_u32_e64 v6, s[0:1], s12, v2
	v_subbrev_co_u32_e64 v4, s[0:1], 0, v4, s[0:1]
	v_cmp_le_u32_e64 s[0:1], s13, v4
	v_subb_co_u32_e32 v3, vcc, v5, v3, vcc
	v_cndmask_b32_e64 v7, 0, -1, s[0:1]
	v_cmp_le_u32_e64 s[0:1], s12, v6
	v_cmp_le_u32_e32 vcc, s13, v3
	v_cndmask_b32_e64 v8, 0, -1, s[0:1]
	v_cmp_eq_u32_e64 s[0:1], s13, v4
	v_cndmask_b32_e64 v5, 0, -1, vcc
	v_cmp_le_u32_e32 vcc, s12, v2
	v_cndmask_b32_e64 v4, v7, v8, s[0:1]
	v_cndmask_b32_e64 v8, 0, -1, vcc
	v_cmp_eq_u32_e32 vcc, s13, v3
	v_subrev_co_u32_e64 v7, s[0:1], s12, v6
	v_cndmask_b32_e32 v3, v5, v8, vcc
	v_cmp_ne_u32_e32 vcc, 0, v4
	v_cndmask_b32_e32 v4, v6, v7, vcc
	v_cmp_ne_u32_e32 vcc, 0, v3
	v_cndmask_b32_e32 v2, v2, v4, vcc
                                        ; implicit-def: $vgpr4_vgpr5
.LBB1_7:
	s_andn2_saveexec_b64 s[0:1], s[2:3]
	s_cbranch_execz .LBB1_9
; %bb.8:
	v_cvt_f32_u32_e32 v2, s12
	s_sub_i32 s2, 0, s12
	v_rcp_iflag_f32_e32 v2, v2
	v_mul_f32_e32 v2, 0x4f7ffffe, v2
	v_cvt_u32_f32_e32 v2, v2
	v_mul_lo_u32 v3, s2, v2
	v_mul_hi_u32 v3, v2, v3
	v_add_u32_e32 v2, v2, v3
	v_mul_hi_u32 v2, v4, v2
	v_mul_lo_u32 v2, v2, s12
	v_sub_u32_e32 v2, v4, v2
	v_subrev_u32_e32 v3, s12, v2
	v_cmp_le_u32_e32 vcc, s12, v2
	v_cndmask_b32_e32 v2, v2, v3, vcc
	v_subrev_u32_e32 v3, s12, v2
	v_cmp_le_u32_e32 vcc, s12, v2
	v_cndmask_b32_e32 v2, v2, v3, vcc
.LBB1_9:
	s_or_b64 exec, exec, s[0:1]
	v_cvt_f32_u32_e32 v12, s24
	v_cvt_f32_u32_e32 v13, s25
	v_or_b32_e32 v4, s25, v1
	v_mov_b32_e32 v3, 0
	v_cmp_ne_u64_e32 vcc, 0, v[3:4]
                                        ; implicit-def: $vgpr3_vgpr4
	s_and_saveexec_b64 s[0:1], vcc
	s_xor_b64 s[2:3], exec, s[0:1]
	s_cbranch_execz .LBB1_11
; %bb.10:
	v_madmk_f32 v3, v13, 0x4f800000, v12
	v_rcp_f32_e32 v3, v3
	s_sub_u32 s6, 0, s24
	s_subb_u32 s7, 0, s25
	v_mul_f32_e32 v3, 0x5f7ffffc, v3
	v_mul_f32_e32 v4, 0x2f800000, v3
	v_trunc_f32_e32 v4, v4
	v_madmk_f32 v3, v4, 0xcf800000, v3
	v_cvt_u32_f32_e32 v4, v4
	v_cvt_u32_f32_e32 v3, v3
	v_readfirstlane_b32 s28, v4
	v_readfirstlane_b32 s0, v3
	s_mul_i32 s1, s6, s28
	s_mul_hi_u32 s30, s6, s0
	s_mul_i32 s29, s7, s0
	s_add_i32 s1, s30, s1
	s_add_i32 s1, s1, s29
	s_mul_i32 s31, s6, s0
	s_mul_i32 s30, s0, s1
	s_mul_hi_u32 s33, s0, s31
	s_mul_hi_u32 s29, s0, s1
	s_add_u32 s30, s33, s30
	s_addc_u32 s29, 0, s29
	s_mul_hi_u32 s34, s28, s31
	s_mul_i32 s31, s28, s31
	s_add_u32 s30, s30, s31
	s_mul_hi_u32 s33, s28, s1
	s_addc_u32 s29, s29, s34
	s_addc_u32 s30, s33, 0
	s_mul_i32 s1, s28, s1
	s_add_u32 s1, s29, s1
	s_addc_u32 s29, 0, s30
	s_add_u32 s30, s0, s1
	s_cselect_b64 s[0:1], -1, 0
	s_cmp_lg_u64 s[0:1], 0
	s_addc_u32 s28, s28, s29
	s_mul_i32 s0, s6, s28
	s_mul_hi_u32 s1, s6, s30
	s_add_i32 s0, s1, s0
	s_mul_i32 s7, s7, s30
	s_add_i32 s0, s0, s7
	s_mul_i32 s6, s6, s30
	s_mul_hi_u32 s7, s28, s6
	s_mul_i32 s29, s28, s6
	s_mul_i32 s33, s30, s0
	s_mul_hi_u32 s6, s30, s6
	s_mul_hi_u32 s31, s30, s0
	s_add_u32 s6, s6, s33
	s_addc_u32 s31, 0, s31
	s_add_u32 s6, s6, s29
	s_mul_hi_u32 s1, s28, s0
	s_addc_u32 s6, s31, s7
	s_addc_u32 s1, s1, 0
	s_mul_i32 s0, s28, s0
	s_add_u32 s0, s6, s0
	s_addc_u32 s6, 0, s1
	s_add_u32 s7, s30, s0
	s_cselect_b64 s[0:1], -1, 0
	s_cmp_lg_u64 s[0:1], 0
	s_addc_u32 s6, s28, s6
	v_mad_u64_u32 v[3:4], s[0:1], v0, s6, 0
	v_mul_hi_u32 v5, v0, s7
	v_add_co_u32_e32 v7, vcc, v5, v3
	v_addc_co_u32_e32 v8, vcc, 0, v4, vcc
	v_mad_u64_u32 v[3:4], s[0:1], v1, s7, 0
	v_mad_u64_u32 v[5:6], s[0:1], v1, s6, 0
	v_add_co_u32_e32 v3, vcc, v7, v3
	v_addc_co_u32_e32 v3, vcc, v8, v4, vcc
	v_addc_co_u32_e32 v4, vcc, 0, v6, vcc
	v_add_co_u32_e32 v5, vcc, v3, v5
	v_addc_co_u32_e32 v6, vcc, 0, v4, vcc
	v_mul_lo_u32 v7, s25, v5
	v_mul_lo_u32 v8, s24, v6
	v_mad_u64_u32 v[3:4], s[0:1], s24, v5, 0
	v_add3_u32 v4, v4, v8, v7
	v_sub_u32_e32 v7, v1, v4
	v_mov_b32_e32 v8, s25
	v_sub_co_u32_e32 v3, vcc, v0, v3
	v_subb_co_u32_e64 v7, s[0:1], v7, v8, vcc
	v_subrev_co_u32_e64 v8, s[0:1], s24, v3
	v_subbrev_co_u32_e64 v7, s[0:1], 0, v7, s[0:1]
	v_cmp_le_u32_e64 s[0:1], s25, v7
	v_cndmask_b32_e64 v9, 0, -1, s[0:1]
	v_cmp_le_u32_e64 s[0:1], s24, v8
	v_cndmask_b32_e64 v8, 0, -1, s[0:1]
	v_cmp_eq_u32_e64 s[0:1], s25, v7
	v_cndmask_b32_e64 v7, v9, v8, s[0:1]
	v_add_co_u32_e64 v8, s[0:1], 2, v5
	v_addc_co_u32_e64 v9, s[0:1], 0, v6, s[0:1]
	v_add_co_u32_e64 v10, s[0:1], 1, v5
	v_addc_co_u32_e64 v11, s[0:1], 0, v6, s[0:1]
	v_subb_co_u32_e32 v4, vcc, v1, v4, vcc
	v_cmp_ne_u32_e64 s[0:1], 0, v7
	v_cmp_le_u32_e32 vcc, s25, v4
	v_cndmask_b32_e64 v7, v11, v9, s[0:1]
	v_cndmask_b32_e64 v9, 0, -1, vcc
	v_cmp_le_u32_e32 vcc, s24, v3
	v_cndmask_b32_e64 v3, 0, -1, vcc
	v_cmp_eq_u32_e32 vcc, s25, v4
	v_cndmask_b32_e32 v3, v9, v3, vcc
	v_cmp_ne_u32_e32 vcc, 0, v3
	v_cndmask_b32_e64 v3, v10, v8, s[0:1]
	v_cndmask_b32_e32 v4, v6, v7, vcc
	v_cndmask_b32_e32 v3, v5, v3, vcc
.LBB1_11:
	s_or_saveexec_b64 s[0:1], s[2:3]
	v_cvt_f32_u32_e32 v14, s24
	s_xor_b64 exec, exec, s[0:1]
	s_cbranch_execz .LBB1_13
; %bb.12:
	v_rcp_iflag_f32_e32 v3, v14
	s_sub_i32 s2, 0, s24
	v_mul_f32_e32 v3, 0x4f7ffffe, v3
	v_cvt_u32_f32_e32 v3, v3
	v_mul_lo_u32 v4, s2, v3
	v_mul_hi_u32 v4, v3, v4
	v_add_u32_e32 v3, v3, v4
	v_mul_hi_u32 v3, v0, v3
	v_mul_lo_u32 v4, v3, s24
	v_add_u32_e32 v5, 1, v3
	v_sub_u32_e32 v4, v0, v4
	v_subrev_u32_e32 v6, s24, v4
	v_cmp_le_u32_e32 vcc, s24, v4
	v_cndmask_b32_e32 v4, v4, v6, vcc
	v_cndmask_b32_e32 v3, v3, v5, vcc
	v_add_u32_e32 v5, 1, v3
	v_cmp_le_u32_e32 vcc, s24, v4
	v_cndmask_b32_e32 v3, v3, v5, vcc
	v_mov_b32_e32 v4, 0
.LBB1_13:
	s_or_b64 exec, exec, s[0:1]
	v_cvt_f32_u32_e32 v9, s22
	v_cvt_f32_u32_e32 v10, s23
	v_or_b32_e32 v6, s23, v1
	v_mov_b32_e32 v5, 0
	v_cmp_ne_u64_e32 vcc, 0, v[5:6]
                                        ; implicit-def: $vgpr5_vgpr6
	s_and_saveexec_b64 s[0:1], vcc
	s_xor_b64 s[2:3], exec, s[0:1]
	s_cbranch_execz .LBB1_15
; %bb.14:
	v_madmk_f32 v5, v10, 0x4f800000, v9
	v_rcp_f32_e32 v5, v5
	s_sub_u32 s6, 0, s22
	s_subb_u32 s7, 0, s23
	v_mul_f32_e32 v5, 0x5f7ffffc, v5
	v_mul_f32_e32 v6, 0x2f800000, v5
	v_trunc_f32_e32 v6, v6
	v_madmk_f32 v5, v6, 0xcf800000, v5
	v_cvt_u32_f32_e32 v6, v6
	v_cvt_u32_f32_e32 v5, v5
	v_readfirstlane_b32 s28, v6
	v_readfirstlane_b32 s0, v5
	s_mul_i32 s1, s6, s28
	s_mul_hi_u32 s30, s6, s0
	s_mul_i32 s29, s7, s0
	s_add_i32 s1, s30, s1
	s_add_i32 s1, s1, s29
	s_mul_i32 s31, s6, s0
	s_mul_i32 s30, s0, s1
	s_mul_hi_u32 s33, s0, s31
	s_mul_hi_u32 s29, s0, s1
	s_add_u32 s30, s33, s30
	s_addc_u32 s29, 0, s29
	s_mul_hi_u32 s34, s28, s31
	s_mul_i32 s31, s28, s31
	s_add_u32 s30, s30, s31
	s_mul_hi_u32 s33, s28, s1
	s_addc_u32 s29, s29, s34
	s_addc_u32 s30, s33, 0
	s_mul_i32 s1, s28, s1
	s_add_u32 s1, s29, s1
	s_addc_u32 s29, 0, s30
	s_add_u32 s30, s0, s1
	s_cselect_b64 s[0:1], -1, 0
	s_cmp_lg_u64 s[0:1], 0
	s_addc_u32 s28, s28, s29
	s_mul_i32 s0, s6, s28
	s_mul_hi_u32 s1, s6, s30
	s_add_i32 s0, s1, s0
	s_mul_i32 s7, s7, s30
	s_add_i32 s0, s0, s7
	s_mul_i32 s6, s6, s30
	s_mul_hi_u32 s7, s28, s6
	s_mul_i32 s29, s28, s6
	s_mul_i32 s33, s30, s0
	s_mul_hi_u32 s6, s30, s6
	s_mul_hi_u32 s31, s30, s0
	s_add_u32 s6, s6, s33
	s_addc_u32 s31, 0, s31
	s_add_u32 s6, s6, s29
	s_mul_hi_u32 s1, s28, s0
	s_addc_u32 s6, s31, s7
	s_addc_u32 s1, s1, 0
	s_mul_i32 s0, s28, s0
	s_add_u32 s0, s6, s0
	s_addc_u32 s6, 0, s1
	s_add_u32 s7, s30, s0
	s_cselect_b64 s[0:1], -1, 0
	s_cmp_lg_u64 s[0:1], 0
	s_addc_u32 s6, s28, s6
	v_mad_u64_u32 v[5:6], s[0:1], v0, s6, 0
	v_mul_hi_u32 v7, v0, s7
	v_add_co_u32_e32 v11, vcc, v7, v5
	v_addc_co_u32_e32 v15, vcc, 0, v6, vcc
	v_mad_u64_u32 v[5:6], s[0:1], v1, s7, 0
	v_mad_u64_u32 v[7:8], s[0:1], v1, s6, 0
	v_add_co_u32_e32 v5, vcc, v11, v5
	v_addc_co_u32_e32 v5, vcc, v15, v6, vcc
	v_addc_co_u32_e32 v6, vcc, 0, v8, vcc
	v_add_co_u32_e32 v7, vcc, v5, v7
	v_addc_co_u32_e32 v8, vcc, 0, v6, vcc
	v_mul_lo_u32 v11, s23, v7
	v_mul_lo_u32 v15, s22, v8
	v_mad_u64_u32 v[5:6], s[0:1], s22, v7, 0
	v_add3_u32 v6, v6, v15, v11
	v_sub_u32_e32 v11, v1, v6
	v_mov_b32_e32 v15, s23
	v_sub_co_u32_e32 v5, vcc, v0, v5
	v_subb_co_u32_e64 v11, s[0:1], v11, v15, vcc
	v_subrev_co_u32_e64 v15, s[0:1], s22, v5
	v_subbrev_co_u32_e64 v11, s[0:1], 0, v11, s[0:1]
	v_cmp_le_u32_e64 s[0:1], s23, v11
	v_cndmask_b32_e64 v16, 0, -1, s[0:1]
	v_cmp_le_u32_e64 s[0:1], s22, v15
	v_cndmask_b32_e64 v15, 0, -1, s[0:1]
	v_cmp_eq_u32_e64 s[0:1], s23, v11
	v_cndmask_b32_e64 v11, v16, v15, s[0:1]
	v_add_co_u32_e64 v15, s[0:1], 2, v7
	v_addc_co_u32_e64 v16, s[0:1], 0, v8, s[0:1]
	v_add_co_u32_e64 v17, s[0:1], 1, v7
	v_addc_co_u32_e64 v18, s[0:1], 0, v8, s[0:1]
	v_subb_co_u32_e32 v6, vcc, v1, v6, vcc
	v_cmp_ne_u32_e64 s[0:1], 0, v11
	v_cmp_le_u32_e32 vcc, s23, v6
	v_cndmask_b32_e64 v11, v18, v16, s[0:1]
	v_cndmask_b32_e64 v16, 0, -1, vcc
	v_cmp_le_u32_e32 vcc, s22, v5
	v_cndmask_b32_e64 v5, 0, -1, vcc
	v_cmp_eq_u32_e32 vcc, s23, v6
	v_cndmask_b32_e32 v5, v16, v5, vcc
	v_cmp_ne_u32_e32 vcc, 0, v5
	v_cndmask_b32_e64 v5, v17, v15, s[0:1]
	v_cndmask_b32_e32 v6, v8, v11, vcc
	v_cndmask_b32_e32 v5, v7, v5, vcc
.LBB1_15:
	s_or_saveexec_b64 s[0:1], s[2:3]
	v_cvt_f32_u32_e32 v11, s22
	s_xor_b64 exec, exec, s[0:1]
	s_cbranch_execz .LBB1_17
; %bb.16:
	v_rcp_iflag_f32_e32 v5, v11
	s_sub_i32 s2, 0, s22
	v_mul_f32_e32 v5, 0x4f7ffffe, v5
	v_cvt_u32_f32_e32 v5, v5
	v_mul_lo_u32 v6, s2, v5
	v_mul_hi_u32 v6, v5, v6
	v_add_u32_e32 v5, v5, v6
	v_mul_hi_u32 v5, v0, v5
	v_mul_lo_u32 v6, v5, s22
	v_add_u32_e32 v7, 1, v5
	v_sub_u32_e32 v6, v0, v6
	v_subrev_u32_e32 v8, s22, v6
	v_cmp_le_u32_e32 vcc, s22, v6
	v_cndmask_b32_e32 v6, v6, v8, vcc
	v_cndmask_b32_e32 v5, v5, v7, vcc
	v_add_u32_e32 v7, 1, v5
	v_cmp_le_u32_e32 vcc, s22, v6
	v_cndmask_b32_e32 v5, v5, v7, vcc
	v_mov_b32_e32 v6, 0
.LBB1_17:
	s_or_b64 exec, exec, s[0:1]
	v_or_b32_e32 v8, s25, v6
	v_mov_b32_e32 v7, 0
	v_cmp_ne_u64_e32 vcc, 0, v[7:8]
                                        ; implicit-def: $vgpr7_vgpr8
	s_and_saveexec_b64 s[0:1], vcc
	s_xor_b64 s[2:3], exec, s[0:1]
	s_cbranch_execz .LBB1_19
; %bb.18:
	v_madmk_f32 v7, v13, 0x4f800000, v12
	v_rcp_f32_e32 v7, v7
	s_sub_u32 s6, 0, s24
	s_subb_u32 s7, 0, s25
	v_mul_f32_e32 v7, 0x5f7ffffc, v7
	v_mul_f32_e32 v8, 0x2f800000, v7
	v_trunc_f32_e32 v8, v8
	v_madmk_f32 v7, v8, 0xcf800000, v7
	v_cvt_u32_f32_e32 v8, v8
	v_cvt_u32_f32_e32 v7, v7
	v_readfirstlane_b32 s28, v8
	v_readfirstlane_b32 s0, v7
	s_mul_i32 s1, s6, s28
	s_mul_hi_u32 s30, s6, s0
	s_mul_i32 s29, s7, s0
	s_add_i32 s1, s30, s1
	s_add_i32 s1, s1, s29
	s_mul_i32 s31, s6, s0
	s_mul_i32 s30, s0, s1
	s_mul_hi_u32 s33, s0, s31
	s_mul_hi_u32 s29, s0, s1
	s_add_u32 s30, s33, s30
	s_addc_u32 s29, 0, s29
	s_mul_hi_u32 s34, s28, s31
	s_mul_i32 s31, s28, s31
	s_add_u32 s30, s30, s31
	s_mul_hi_u32 s33, s28, s1
	s_addc_u32 s29, s29, s34
	s_addc_u32 s30, s33, 0
	s_mul_i32 s1, s28, s1
	s_add_u32 s1, s29, s1
	s_addc_u32 s29, 0, s30
	s_add_u32 s30, s0, s1
	s_cselect_b64 s[0:1], -1, 0
	s_cmp_lg_u64 s[0:1], 0
	s_addc_u32 s28, s28, s29
	s_mul_i32 s0, s6, s28
	s_mul_hi_u32 s1, s6, s30
	s_add_i32 s0, s1, s0
	s_mul_i32 s7, s7, s30
	s_add_i32 s0, s0, s7
	s_mul_i32 s6, s6, s30
	s_mul_hi_u32 s7, s28, s6
	s_mul_i32 s29, s28, s6
	s_mul_i32 s33, s30, s0
	s_mul_hi_u32 s6, s30, s6
	s_mul_hi_u32 s31, s30, s0
	s_add_u32 s6, s6, s33
	s_addc_u32 s31, 0, s31
	s_add_u32 s6, s6, s29
	s_mul_hi_u32 s1, s28, s0
	s_addc_u32 s6, s31, s7
	s_addc_u32 s1, s1, 0
	s_mul_i32 s0, s28, s0
	s_add_u32 s0, s6, s0
	s_addc_u32 s6, 0, s1
	s_add_u32 s7, s30, s0
	s_cselect_b64 s[0:1], -1, 0
	s_cmp_lg_u64 s[0:1], 0
	s_addc_u32 s6, s28, s6
	v_mad_u64_u32 v[7:8], s[0:1], v5, s6, 0
	v_mul_hi_u32 v12, v5, s7
	v_add_co_u32_e32 v14, vcc, v12, v7
	v_addc_co_u32_e32 v15, vcc, 0, v8, vcc
	v_mad_u64_u32 v[7:8], s[0:1], v6, s7, 0
	v_mad_u64_u32 v[12:13], s[0:1], v6, s6, 0
	v_add_co_u32_e32 v7, vcc, v14, v7
	v_addc_co_u32_e32 v7, vcc, v15, v8, vcc
	v_addc_co_u32_e32 v8, vcc, 0, v13, vcc
	v_add_co_u32_e32 v12, vcc, v7, v12
	v_addc_co_u32_e32 v13, vcc, 0, v8, vcc
	v_mul_lo_u32 v14, s25, v12
	v_mul_lo_u32 v15, s24, v13
	v_mad_u64_u32 v[7:8], s[0:1], s24, v12, 0
	v_add3_u32 v8, v8, v15, v14
	v_sub_u32_e32 v14, v6, v8
	v_mov_b32_e32 v15, s25
	v_sub_co_u32_e32 v5, vcc, v5, v7
	v_subb_co_u32_e64 v7, s[0:1], v14, v15, vcc
	v_subrev_co_u32_e64 v14, s[0:1], s24, v5
	v_subbrev_co_u32_e64 v7, s[0:1], 0, v7, s[0:1]
	v_cmp_le_u32_e64 s[0:1], s25, v7
	v_cndmask_b32_e64 v15, 0, -1, s[0:1]
	v_cmp_le_u32_e64 s[0:1], s24, v14
	v_cndmask_b32_e64 v14, 0, -1, s[0:1]
	v_cmp_eq_u32_e64 s[0:1], s25, v7
	v_cndmask_b32_e64 v7, v15, v14, s[0:1]
	v_add_co_u32_e64 v14, s[0:1], 2, v12
	v_subb_co_u32_e32 v6, vcc, v6, v8, vcc
	v_addc_co_u32_e64 v15, s[0:1], 0, v13, s[0:1]
	v_cmp_le_u32_e32 vcc, s25, v6
	v_add_co_u32_e64 v16, s[0:1], 1, v12
	v_cndmask_b32_e64 v8, 0, -1, vcc
	v_cmp_le_u32_e32 vcc, s24, v5
	v_addc_co_u32_e64 v17, s[0:1], 0, v13, s[0:1]
	v_cndmask_b32_e64 v5, 0, -1, vcc
	v_cmp_eq_u32_e32 vcc, s25, v6
	v_cmp_ne_u32_e64 s[0:1], 0, v7
	v_cndmask_b32_e32 v5, v8, v5, vcc
	v_cndmask_b32_e64 v7, v17, v15, s[0:1]
	v_cmp_ne_u32_e32 vcc, 0, v5
	v_cndmask_b32_e64 v5, v16, v14, s[0:1]
	v_cndmask_b32_e32 v8, v13, v7, vcc
	v_cndmask_b32_e32 v7, v12, v5, vcc
                                        ; implicit-def: $vgpr14
                                        ; implicit-def: $vgpr5_vgpr6
.LBB1_19:
	s_andn2_saveexec_b64 s[0:1], s[2:3]
	s_cbranch_execz .LBB1_21
; %bb.20:
	v_rcp_iflag_f32_e32 v6, v14
	s_sub_i32 s2, 0, s24
	v_mul_f32_e32 v6, 0x4f7ffffe, v6
	v_cvt_u32_f32_e32 v6, v6
	v_mul_lo_u32 v7, s2, v6
	v_mul_hi_u32 v7, v6, v7
	v_add_u32_e32 v6, v6, v7
	v_mul_hi_u32 v6, v5, v6
	v_mul_lo_u32 v7, v6, s24
	v_add_u32_e32 v8, 1, v6
	v_sub_u32_e32 v5, v5, v7
	v_subrev_u32_e32 v7, s24, v5
	v_cmp_le_u32_e32 vcc, s24, v5
	v_cndmask_b32_e32 v5, v5, v7, vcc
	v_cndmask_b32_e32 v6, v6, v8, vcc
	v_add_u32_e32 v7, 1, v6
	v_cmp_le_u32_e32 vcc, s24, v5
	v_cndmask_b32_e32 v7, v6, v7, vcc
	v_mov_b32_e32 v8, 0
.LBB1_21:
	s_or_b64 exec, exec, s[0:1]
	v_or_b32_e32 v6, s21, v8
	v_mov_b32_e32 v5, 0
	v_cmp_ne_u64_e32 vcc, 0, v[5:6]
                                        ; implicit-def: $vgpr5_vgpr6
	s_and_saveexec_b64 s[0:1], vcc
	s_xor_b64 s[2:3], exec, s[0:1]
	s_cbranch_execz .LBB1_23
; %bb.22:
	v_cvt_f32_u32_e32 v5, s20
	v_cvt_f32_u32_e32 v6, s21
	s_sub_u32 s6, 0, s20
	s_subb_u32 s7, 0, s21
	v_madmk_f32 v5, v6, 0x4f800000, v5
	v_rcp_f32_e32 v5, v5
	v_mul_f32_e32 v5, 0x5f7ffffc, v5
	v_mul_f32_e32 v6, 0x2f800000, v5
	v_trunc_f32_e32 v6, v6
	v_madmk_f32 v5, v6, 0xcf800000, v5
	v_cvt_u32_f32_e32 v6, v6
	v_cvt_u32_f32_e32 v5, v5
	v_readfirstlane_b32 s28, v6
	v_readfirstlane_b32 s0, v5
	s_mul_i32 s1, s6, s28
	s_mul_hi_u32 s30, s6, s0
	s_mul_i32 s29, s7, s0
	s_add_i32 s1, s30, s1
	s_mul_i32 s31, s6, s0
	s_add_i32 s1, s1, s29
	s_mul_i32 s30, s0, s1
	s_mul_hi_u32 s33, s0, s31
	s_mul_hi_u32 s29, s0, s1
	s_add_u32 s30, s33, s30
	s_addc_u32 s29, 0, s29
	s_mul_hi_u32 s34, s28, s31
	s_mul_i32 s31, s28, s31
	s_add_u32 s30, s30, s31
	s_mul_hi_u32 s33, s28, s1
	s_addc_u32 s29, s29, s34
	s_addc_u32 s30, s33, 0
	s_mul_i32 s1, s28, s1
	s_add_u32 s1, s29, s1
	s_addc_u32 s29, 0, s30
	s_add_u32 s30, s0, s1
	s_cselect_b64 s[0:1], -1, 0
	s_cmp_lg_u64 s[0:1], 0
	s_addc_u32 s28, s28, s29
	s_mul_i32 s0, s6, s28
	s_mul_hi_u32 s1, s6, s30
	s_add_i32 s0, s1, s0
	s_mul_i32 s7, s7, s30
	s_add_i32 s0, s0, s7
	s_mul_i32 s6, s6, s30
	s_mul_hi_u32 s7, s28, s6
	s_mul_i32 s29, s28, s6
	s_mul_i32 s33, s30, s0
	s_mul_hi_u32 s6, s30, s6
	s_mul_hi_u32 s31, s30, s0
	s_add_u32 s6, s6, s33
	s_addc_u32 s31, 0, s31
	s_add_u32 s6, s6, s29
	s_mul_hi_u32 s1, s28, s0
	s_addc_u32 s6, s31, s7
	s_addc_u32 s1, s1, 0
	s_mul_i32 s0, s28, s0
	s_add_u32 s0, s6, s0
	s_addc_u32 s6, 0, s1
	s_add_u32 s7, s30, s0
	s_cselect_b64 s[0:1], -1, 0
	s_cmp_lg_u64 s[0:1], 0
	s_addc_u32 s6, s28, s6
	v_mad_u64_u32 v[5:6], s[0:1], v7, s6, 0
	v_mul_hi_u32 v12, v7, s7
	v_add_co_u32_e32 v14, vcc, v12, v5
	v_addc_co_u32_e32 v15, vcc, 0, v6, vcc
	v_mad_u64_u32 v[5:6], s[0:1], v8, s7, 0
	v_mad_u64_u32 v[12:13], s[0:1], v8, s6, 0
	v_add_co_u32_e32 v5, vcc, v14, v5
	v_addc_co_u32_e32 v5, vcc, v15, v6, vcc
	v_addc_co_u32_e32 v6, vcc, 0, v13, vcc
	v_add_co_u32_e32 v5, vcc, v5, v12
	v_addc_co_u32_e32 v6, vcc, 0, v6, vcc
	v_mul_lo_u32 v12, s21, v5
	v_mul_lo_u32 v13, s20, v6
	v_mad_u64_u32 v[5:6], s[0:1], s20, v5, 0
	v_add3_u32 v6, v6, v13, v12
	v_sub_u32_e32 v12, v8, v6
	v_mov_b32_e32 v13, s21
	v_sub_co_u32_e32 v5, vcc, v7, v5
	v_subb_co_u32_e64 v7, s[0:1], v12, v13, vcc
	v_subrev_co_u32_e64 v12, s[0:1], s20, v5
	v_subbrev_co_u32_e64 v7, s[0:1], 0, v7, s[0:1]
	v_cmp_le_u32_e64 s[0:1], s21, v7
	v_subb_co_u32_e32 v6, vcc, v8, v6, vcc
	v_cndmask_b32_e64 v13, 0, -1, s[0:1]
	v_cmp_le_u32_e64 s[0:1], s20, v12
	v_cmp_le_u32_e32 vcc, s21, v6
	v_cndmask_b32_e64 v14, 0, -1, s[0:1]
	v_cmp_eq_u32_e64 s[0:1], s21, v7
	v_cndmask_b32_e64 v8, 0, -1, vcc
	v_cmp_le_u32_e32 vcc, s20, v5
	v_cndmask_b32_e64 v7, v13, v14, s[0:1]
	v_cndmask_b32_e64 v14, 0, -1, vcc
	v_cmp_eq_u32_e32 vcc, s21, v6
	v_subrev_co_u32_e64 v13, s[0:1], s20, v12
	v_cndmask_b32_e32 v6, v8, v14, vcc
	v_cmp_ne_u32_e32 vcc, 0, v7
	v_cndmask_b32_e32 v7, v12, v13, vcc
	v_cmp_ne_u32_e32 vcc, 0, v6
	v_cndmask_b32_e32 v5, v5, v7, vcc
                                        ; implicit-def: $vgpr7_vgpr8
.LBB1_23:
	s_andn2_saveexec_b64 s[0:1], s[2:3]
	s_cbranch_execz .LBB1_25
; %bb.24:
	v_cvt_f32_u32_e32 v5, s20
	s_sub_i32 s2, 0, s20
	v_rcp_iflag_f32_e32 v5, v5
	v_mul_f32_e32 v5, 0x4f7ffffe, v5
	v_cvt_u32_f32_e32 v5, v5
	v_mul_lo_u32 v6, s2, v5
	v_mul_hi_u32 v6, v5, v6
	v_add_u32_e32 v5, v5, v6
	v_mul_hi_u32 v5, v7, v5
	v_mul_lo_u32 v5, v5, s20
	v_sub_u32_e32 v5, v7, v5
	v_subrev_u32_e32 v6, s20, v5
	v_cmp_le_u32_e32 vcc, s20, v5
	v_cndmask_b32_e32 v5, v5, v6, vcc
	v_subrev_u32_e32 v6, s20, v5
	v_cmp_le_u32_e32 vcc, s20, v5
	v_cndmask_b32_e32 v5, v5, v6, vcc
.LBB1_25:
	s_or_b64 exec, exec, s[0:1]
	v_or_b32_e32 v7, s23, v4
	v_mov_b32_e32 v6, 0
	v_cmp_ne_u64_e32 vcc, 0, v[6:7]
                                        ; implicit-def: $vgpr6_vgpr7
	s_and_saveexec_b64 s[0:1], vcc
	s_xor_b64 s[2:3], exec, s[0:1]
	s_cbranch_execz .LBB1_27
; %bb.26:
	v_madmk_f32 v6, v10, 0x4f800000, v9
	v_rcp_f32_e32 v6, v6
	s_sub_u32 s6, 0, s22
	s_subb_u32 s7, 0, s23
	v_mul_f32_e32 v6, 0x5f7ffffc, v6
	v_mul_f32_e32 v7, 0x2f800000, v6
	v_trunc_f32_e32 v7, v7
	v_madmk_f32 v6, v7, 0xcf800000, v6
	v_cvt_u32_f32_e32 v7, v7
	v_cvt_u32_f32_e32 v6, v6
	v_readfirstlane_b32 s28, v7
	v_readfirstlane_b32 s0, v6
	s_mul_i32 s1, s6, s28
	s_mul_hi_u32 s30, s6, s0
	s_mul_i32 s29, s7, s0
	s_add_i32 s1, s30, s1
	s_add_i32 s1, s1, s29
	s_mul_i32 s31, s6, s0
	s_mul_i32 s30, s0, s1
	s_mul_hi_u32 s33, s0, s31
	s_mul_hi_u32 s29, s0, s1
	s_add_u32 s30, s33, s30
	s_addc_u32 s29, 0, s29
	s_mul_hi_u32 s34, s28, s31
	s_mul_i32 s31, s28, s31
	s_add_u32 s30, s30, s31
	s_mul_hi_u32 s33, s28, s1
	s_addc_u32 s29, s29, s34
	s_addc_u32 s30, s33, 0
	s_mul_i32 s1, s28, s1
	s_add_u32 s1, s29, s1
	s_addc_u32 s29, 0, s30
	s_add_u32 s30, s0, s1
	s_cselect_b64 s[0:1], -1, 0
	s_cmp_lg_u64 s[0:1], 0
	s_addc_u32 s28, s28, s29
	s_mul_i32 s0, s6, s28
	s_mul_hi_u32 s1, s6, s30
	s_add_i32 s0, s1, s0
	s_mul_i32 s7, s7, s30
	s_add_i32 s0, s0, s7
	s_mul_i32 s6, s6, s30
	s_mul_hi_u32 s7, s28, s6
	s_mul_i32 s29, s28, s6
	s_mul_i32 s33, s30, s0
	s_mul_hi_u32 s6, s30, s6
	s_mul_hi_u32 s31, s30, s0
	s_add_u32 s6, s6, s33
	s_addc_u32 s31, 0, s31
	s_add_u32 s6, s6, s29
	s_mul_hi_u32 s1, s28, s0
	s_addc_u32 s6, s31, s7
	s_addc_u32 s1, s1, 0
	s_mul_i32 s0, s28, s0
	s_add_u32 s0, s6, s0
	s_addc_u32 s6, 0, s1
	s_add_u32 s7, s30, s0
	s_cselect_b64 s[0:1], -1, 0
	s_cmp_lg_u64 s[0:1], 0
	s_addc_u32 s6, s28, s6
	v_mad_u64_u32 v[6:7], s[0:1], v3, s6, 0
	v_mul_hi_u32 v8, v3, s7
	v_add_co_u32_e32 v10, vcc, v8, v6
	v_addc_co_u32_e32 v11, vcc, 0, v7, vcc
	v_mad_u64_u32 v[6:7], s[0:1], v4, s7, 0
	v_mad_u64_u32 v[8:9], s[0:1], v4, s6, 0
	v_add_co_u32_e32 v6, vcc, v10, v6
	v_addc_co_u32_e32 v6, vcc, v11, v7, vcc
	v_addc_co_u32_e32 v7, vcc, 0, v9, vcc
	v_add_co_u32_e32 v6, vcc, v6, v8
	v_addc_co_u32_e32 v7, vcc, 0, v7, vcc
	v_mul_lo_u32 v8, s23, v6
	v_mul_lo_u32 v9, s22, v7
	v_mad_u64_u32 v[6:7], s[0:1], s22, v6, 0
	v_add3_u32 v7, v7, v9, v8
	v_sub_u32_e32 v8, v4, v7
	v_mov_b32_e32 v9, s23
	v_sub_co_u32_e32 v6, vcc, v3, v6
	v_subb_co_u32_e64 v8, s[0:1], v8, v9, vcc
	v_subrev_co_u32_e64 v9, s[0:1], s22, v6
	v_subbrev_co_u32_e64 v8, s[0:1], 0, v8, s[0:1]
	v_cmp_le_u32_e64 s[0:1], s23, v8
	v_subb_co_u32_e32 v4, vcc, v4, v7, vcc
	v_cndmask_b32_e64 v10, 0, -1, s[0:1]
	v_cmp_le_u32_e64 s[0:1], s22, v9
	v_cmp_le_u32_e32 vcc, s23, v4
	v_cndmask_b32_e64 v11, 0, -1, s[0:1]
	v_cmp_eq_u32_e64 s[0:1], s23, v8
	v_cndmask_b32_e64 v7, 0, -1, vcc
	v_cmp_le_u32_e32 vcc, s22, v6
	v_cndmask_b32_e64 v8, v10, v11, s[0:1]
	v_cndmask_b32_e64 v11, 0, -1, vcc
	v_cmp_eq_u32_e32 vcc, s23, v4
	v_subrev_co_u32_e64 v10, s[0:1], s22, v9
	v_cndmask_b32_e32 v4, v7, v11, vcc
	v_cmp_ne_u32_e32 vcc, 0, v8
	v_cndmask_b32_e32 v7, v9, v10, vcc
	v_cmp_ne_u32_e32 vcc, 0, v4
	v_cndmask_b32_e32 v6, v6, v7, vcc
                                        ; implicit-def: $vgpr11
.LBB1_27:
	s_andn2_saveexec_b64 s[0:1], s[2:3]
	s_cbranch_execz .LBB1_29
; %bb.28:
	v_rcp_iflag_f32_e32 v4, v11
	s_sub_i32 s2, 0, s22
	v_mul_f32_e32 v4, 0x4f7ffffe, v4
	v_cvt_u32_f32_e32 v4, v4
	v_mul_lo_u32 v6, s2, v4
	v_mul_hi_u32 v6, v4, v6
	v_add_u32_e32 v4, v4, v6
	v_mul_hi_u32 v4, v3, v4
	v_mul_lo_u32 v4, v4, s22
	v_sub_u32_e32 v4, v3, v4
	v_subrev_u32_e32 v6, s22, v4
	v_cmp_le_u32_e32 vcc, s22, v4
	v_cndmask_b32_e32 v4, v4, v6, vcc
	v_subrev_u32_e32 v6, s22, v4
	v_cmp_le_u32_e32 vcc, s22, v4
	v_cndmask_b32_e32 v6, v4, v6, vcc
.LBB1_29:
	s_or_b64 exec, exec, s[0:1]
	s_load_dwordx4 s[0:3], s[4:5], 0x50
	v_mul_lo_u32 v3, v3, s24
	v_cvt_f32_i32_e32 v4, v5
	v_cvt_f32_i32_e32 v6, v6
	s_waitcnt lgkmcnt(0)
	s_add_i32 s3, s14, -1
	v_sub_u32_e32 v3, v0, v3
	v_mul_f32_e32 v4, s0, v4
	v_cvt_f32_i32_e32 v3, v3
	v_floor_f32_e32 v4, v4
	v_cvt_i32_f32_e32 v4, v4
	s_mul_i32 s4, s18, s17
	v_mul_f32_e32 v3, s2, v3
	s_mul_hi_u32 s0, s18, s16
	v_floor_f32_e32 v3, v3
	s_mul_i32 s5, s19, s16
	s_add_i32 s0, s0, s4
	v_min_i32_e32 v7, s3, v4
	s_mul_i32 s3, s18, s16
	v_cvt_i32_f32_e32 v3, v3
	s_add_i32 s0, s0, s5
	s_mul_i32 s4, s3, s15
	s_mul_hi_u32 s5, s3, s14
	s_add_i32 s4, s5, s4
	s_mul_i32 s0, s0, s14
	v_mul_f32_e32 v6, s1, v6
	s_add_i32 s4, s4, s0
	s_add_i32 s0, s18, -1
	v_floor_f32_e32 v6, v6
	v_min_i32_e32 v3, s0, v3
	v_cvt_i32_f32_e32 v6, v6
	s_mul_i32 s2, s3, s14
	v_ashrrev_i32_e32 v4, 31, v3
	v_ashrrev_i32_e32 v5, 31, v2
	v_mul_lo_u32 v9, v2, s4
	v_mad_u64_u32 v[2:3], s[0:1], v2, s2, v[3:4]
	s_add_i32 s0, s16, -1
	v_min_i32_e32 v4, s0, v6
	v_mul_lo_u32 v10, v5, s2
	v_ashrrev_i32_e32 v5, 31, v4
	v_mad_u64_u32 v[4:5], s[0:1], s16, v7, v[4:5]
	v_add3_u32 v3, v10, v3, v9
	v_ashrrev_i32_e32 v8, 31, v7
	v_mad_u64_u32 v[2:3], s[0:1], v4, s18, v[2:3]
	s_mul_i32 s0, s2, s13
	s_mul_hi_u32 s1, s2, s12
	s_mul_i32 s4, s4, s12
	s_add_i32 s0, s1, s0
	v_mul_lo_u32 v6, s16, v8
	v_mul_lo_u32 v7, s17, v7
	s_add_i32 s7, s0, s4
	s_mul_i32 s0, s24, s23
	s_mul_hi_u32 s1, s24, s22
	s_add_i32 s0, s1, s0
	s_mul_i32 s1, s25, s22
	s_add_i32 s0, s0, s1
	s_mul_i32 s1, s24, s22
	s_mul_i32 s6, s2, s12
	;; [unrolled: 1-line block ×3, first 2 shown]
	s_mul_hi_u32 s3, s1, s20
	v_add3_u32 v5, v7, v5, v6
	s_add_i32 s2, s3, s2
	s_mul_i32 s0, s0, s20
	v_mul_lo_u32 v5, v5, s18
	v_mul_lo_u32 v4, v4, s19
	s_add_i32 s0, s2, s0
	s_mul_i32 s2, s1, s20
	s_mul_i32 s1, s2, s13
	s_mul_hi_u32 s3, s2, s12
	v_lshlrev_b64 v[0:1], 2, v[0:1]
	s_mul_i32 s0, s0, s12
	s_add_i32 s1, s3, s1
	s_add_i32 s1, s1, s0
	s_mul_i32 s0, s2, s12
	v_add3_u32 v3, v5, v3, v4
	v_mov_b32_e32 v4, s27
	v_add_co_u32_e32 v0, vcc, s26, v0
	s_lshl_b64 s[2:3], s[0:1], 2
	v_addc_co_u32_e32 v1, vcc, v4, v1, vcc
	s_mov_b64 s[4:5], 0
	v_mov_b32_e32 v4, s9
	v_mov_b32_e32 v5, s7
	;; [unrolled: 1-line block ×3, first 2 shown]
.LBB1_30:                               ; =>This Inner Loop Header: Depth=1
	v_lshlrev_b64 v[7:8], 2, v[2:3]
	s_add_u32 s4, s4, 1
	v_add_co_u32_e32 v7, vcc, s8, v7
	v_addc_co_u32_e32 v8, vcc, v4, v8, vcc
	global_load_dword v9, v[7:8], off
	s_addc_u32 s5, s5, 0
	v_add_co_u32_e32 v2, vcc, s6, v2
	v_mov_b32_e32 v8, s5
	v_addc_co_u32_e32 v3, vcc, v3, v5, vcc
	v_mov_b32_e32 v7, s4
	v_cmp_gt_u64_e32 vcc, s[10:11], v[7:8]
	s_and_b64 vcc, exec, vcc
	s_waitcnt vmcnt(0)
	global_store_dword v[0:1], v9, off
	v_add_co_u32_e64 v0, s[0:1], s2, v0
	v_addc_co_u32_e64 v1, s[0:1], v1, v6, s[0:1]
	s_cbranch_vccnz .LBB1_30
.LBB1_31:
	s_endpgm
	.section	.rodata,"a",@progbits
	.p2align	6, 0x0
	.amdhsa_kernel _ZN2at6native12_GLOBAL__N_128upsample_nearest3d_out_frameIfXadL_ZNS0_37nearest_neighbor_compute_source_indexEfiiEEEEvPKT_mmmmmmmmPS3_fff
		.amdhsa_group_segment_fixed_size 0
		.amdhsa_private_segment_fixed_size 0
		.amdhsa_kernarg_size 352
		.amdhsa_user_sgpr_count 6
		.amdhsa_user_sgpr_private_segment_buffer 1
		.amdhsa_user_sgpr_dispatch_ptr 0
		.amdhsa_user_sgpr_queue_ptr 0
		.amdhsa_user_sgpr_kernarg_segment_ptr 1
		.amdhsa_user_sgpr_dispatch_id 0
		.amdhsa_user_sgpr_flat_scratch_init 0
		.amdhsa_user_sgpr_private_segment_size 0
		.amdhsa_uses_dynamic_stack 0
		.amdhsa_system_sgpr_private_segment_wavefront_offset 0
		.amdhsa_system_sgpr_workgroup_id_x 1
		.amdhsa_system_sgpr_workgroup_id_y 0
		.amdhsa_system_sgpr_workgroup_id_z 0
		.amdhsa_system_sgpr_workgroup_info 0
		.amdhsa_system_vgpr_workitem_id 0
		.amdhsa_next_free_vgpr 19
		.amdhsa_next_free_sgpr 39
		.amdhsa_reserve_vcc 1
		.amdhsa_reserve_flat_scratch 0
		.amdhsa_float_round_mode_32 0
		.amdhsa_float_round_mode_16_64 0
		.amdhsa_float_denorm_mode_32 3
		.amdhsa_float_denorm_mode_16_64 3
		.amdhsa_dx10_clamp 1
		.amdhsa_ieee_mode 1
		.amdhsa_fp16_overflow 0
		.amdhsa_exception_fp_ieee_invalid_op 0
		.amdhsa_exception_fp_denorm_src 0
		.amdhsa_exception_fp_ieee_div_zero 0
		.amdhsa_exception_fp_ieee_overflow 0
		.amdhsa_exception_fp_ieee_underflow 0
		.amdhsa_exception_fp_ieee_inexact 0
		.amdhsa_exception_int_div_zero 0
	.end_amdhsa_kernel
	.section	.text._ZN2at6native12_GLOBAL__N_128upsample_nearest3d_out_frameIfXadL_ZNS0_37nearest_neighbor_compute_source_indexEfiiEEEEvPKT_mmmmmmmmPS3_fff,"axG",@progbits,_ZN2at6native12_GLOBAL__N_128upsample_nearest3d_out_frameIfXadL_ZNS0_37nearest_neighbor_compute_source_indexEfiiEEEEvPKT_mmmmmmmmPS3_fff,comdat
.Lfunc_end1:
	.size	_ZN2at6native12_GLOBAL__N_128upsample_nearest3d_out_frameIfXadL_ZNS0_37nearest_neighbor_compute_source_indexEfiiEEEEvPKT_mmmmmmmmPS3_fff, .Lfunc_end1-_ZN2at6native12_GLOBAL__N_128upsample_nearest3d_out_frameIfXadL_ZNS0_37nearest_neighbor_compute_source_indexEfiiEEEEvPKT_mmmmmmmmPS3_fff
                                        ; -- End function
	.set _ZN2at6native12_GLOBAL__N_128upsample_nearest3d_out_frameIfXadL_ZNS0_37nearest_neighbor_compute_source_indexEfiiEEEEvPKT_mmmmmmmmPS3_fff.num_vgpr, 19
	.set _ZN2at6native12_GLOBAL__N_128upsample_nearest3d_out_frameIfXadL_ZNS0_37nearest_neighbor_compute_source_indexEfiiEEEEvPKT_mmmmmmmmPS3_fff.num_agpr, 0
	.set _ZN2at6native12_GLOBAL__N_128upsample_nearest3d_out_frameIfXadL_ZNS0_37nearest_neighbor_compute_source_indexEfiiEEEEvPKT_mmmmmmmmPS3_fff.numbered_sgpr, 39
	.set _ZN2at6native12_GLOBAL__N_128upsample_nearest3d_out_frameIfXadL_ZNS0_37nearest_neighbor_compute_source_indexEfiiEEEEvPKT_mmmmmmmmPS3_fff.num_named_barrier, 0
	.set _ZN2at6native12_GLOBAL__N_128upsample_nearest3d_out_frameIfXadL_ZNS0_37nearest_neighbor_compute_source_indexEfiiEEEEvPKT_mmmmmmmmPS3_fff.private_seg_size, 0
	.set _ZN2at6native12_GLOBAL__N_128upsample_nearest3d_out_frameIfXadL_ZNS0_37nearest_neighbor_compute_source_indexEfiiEEEEvPKT_mmmmmmmmPS3_fff.uses_vcc, 1
	.set _ZN2at6native12_GLOBAL__N_128upsample_nearest3d_out_frameIfXadL_ZNS0_37nearest_neighbor_compute_source_indexEfiiEEEEvPKT_mmmmmmmmPS3_fff.uses_flat_scratch, 0
	.set _ZN2at6native12_GLOBAL__N_128upsample_nearest3d_out_frameIfXadL_ZNS0_37nearest_neighbor_compute_source_indexEfiiEEEEvPKT_mmmmmmmmPS3_fff.has_dyn_sized_stack, 0
	.set _ZN2at6native12_GLOBAL__N_128upsample_nearest3d_out_frameIfXadL_ZNS0_37nearest_neighbor_compute_source_indexEfiiEEEEvPKT_mmmmmmmmPS3_fff.has_recursion, 0
	.set _ZN2at6native12_GLOBAL__N_128upsample_nearest3d_out_frameIfXadL_ZNS0_37nearest_neighbor_compute_source_indexEfiiEEEEvPKT_mmmmmmmmPS3_fff.has_indirect_call, 0
	.section	.AMDGPU.csdata,"",@progbits
; Kernel info:
; codeLenInByte = 5348
; TotalNumSgprs: 43
; NumVgprs: 19
; ScratchSize: 0
; MemoryBound: 0
; FloatMode: 240
; IeeeMode: 1
; LDSByteSize: 0 bytes/workgroup (compile time only)
; SGPRBlocks: 5
; VGPRBlocks: 4
; NumSGPRsForWavesPerEU: 43
; NumVGPRsForWavesPerEU: 19
; Occupancy: 10
; WaveLimiterHint : 0
; COMPUTE_PGM_RSRC2:SCRATCH_EN: 0
; COMPUTE_PGM_RSRC2:USER_SGPR: 6
; COMPUTE_PGM_RSRC2:TRAP_HANDLER: 0
; COMPUTE_PGM_RSRC2:TGID_X_EN: 1
; COMPUTE_PGM_RSRC2:TGID_Y_EN: 0
; COMPUTE_PGM_RSRC2:TGID_Z_EN: 0
; COMPUTE_PGM_RSRC2:TIDIG_COMP_CNT: 0
	.section	.text._ZN2at6native12_GLOBAL__N_128upsample_nearest3d_out_frameIN3c104HalfEXadL_ZNS0_37nearest_neighbor_compute_source_indexEfiiEEEEvPKT_mmmmmmmmPS5_fff,"axG",@progbits,_ZN2at6native12_GLOBAL__N_128upsample_nearest3d_out_frameIN3c104HalfEXadL_ZNS0_37nearest_neighbor_compute_source_indexEfiiEEEEvPKT_mmmmmmmmPS5_fff,comdat
	.globl	_ZN2at6native12_GLOBAL__N_128upsample_nearest3d_out_frameIN3c104HalfEXadL_ZNS0_37nearest_neighbor_compute_source_indexEfiiEEEEvPKT_mmmmmmmmPS5_fff ; -- Begin function _ZN2at6native12_GLOBAL__N_128upsample_nearest3d_out_frameIN3c104HalfEXadL_ZNS0_37nearest_neighbor_compute_source_indexEfiiEEEEvPKT_mmmmmmmmPS5_fff
	.p2align	8
	.type	_ZN2at6native12_GLOBAL__N_128upsample_nearest3d_out_frameIN3c104HalfEXadL_ZNS0_37nearest_neighbor_compute_source_indexEfiiEEEEvPKT_mmmmmmmmPS5_fff,@function
_ZN2at6native12_GLOBAL__N_128upsample_nearest3d_out_frameIN3c104HalfEXadL_ZNS0_37nearest_neighbor_compute_source_indexEfiiEEEEvPKT_mmmmmmmmPS5_fff: ; @_ZN2at6native12_GLOBAL__N_128upsample_nearest3d_out_frameIN3c104HalfEXadL_ZNS0_37nearest_neighbor_compute_source_indexEfiiEEEEvPKT_mmmmmmmmPS5_fff
; %bb.0:
	s_load_dword s0, s[4:5], 0x6c
	s_load_dwordx4 s[24:27], s[4:5], 0x40
	s_load_dwordx16 s[8:23], s[4:5], 0x0
	v_mov_b32_e32 v2, 0
	v_mov_b32_e32 v1, v2
	s_waitcnt lgkmcnt(0)
	s_and_b32 s0, s0, 0xffff
	v_mov_b32_e32 v3, s6
	v_mad_u64_u32 v[0:1], s[0:1], s0, v3, v[0:1]
	s_mul_i32 s0, s22, s21
	s_mul_hi_u32 s1, s22, s20
	s_add_i32 s1, s1, s0
	s_mul_i32 s0, s23, s20
	s_add_i32 s1, s1, s0
	s_mul_i32 s0, s22, s20
	s_mul_i32 s2, s0, s13
	s_mul_hi_u32 s3, s0, s12
	s_add_i32 s2, s3, s2
	s_mul_i32 s3, s1, s12
	s_mul_i32 s6, s0, s12
	s_add_i32 s2, s2, s3
	s_mul_i32 s3, s6, s25
	s_mul_hi_u32 s7, s6, s24
	s_mul_i32 s2, s2, s24
	s_add_i32 s3, s7, s3
	s_add_i32 s3, s3, s2
	s_mul_i32 s2, s6, s24
	v_cmp_gt_u64_e32 vcc, s[2:3], v[0:1]
	s_cmp_lg_u64 s[10:11], 0
	s_cselect_b64 s[2:3], -1, 0
	s_and_b64 s[2:3], vcc, s[2:3]
	s_and_saveexec_b64 s[6:7], s[2:3]
	s_cbranch_execz .LBB2_31
; %bb.1:
	s_mul_i32 s2, s0, s25
	s_mul_hi_u32 s3, s0, s24
	s_add_i32 s2, s3, s2
	s_mul_i32 s1, s1, s24
	s_add_i32 s1, s2, s1
	v_or_b32_e32 v3, s1, v1
	v_cmp_ne_u64_e32 vcc, 0, v[2:3]
	s_mul_i32 s30, s0, s24
                                        ; implicit-def: $vgpr4_vgpr5
	s_and_saveexec_b64 s[2:3], vcc
	s_xor_b64 s[2:3], exec, s[2:3]
	s_cbranch_execz .LBB2_3
; %bb.2:
	s_ashr_i32 s6, s1, 31
	s_add_u32 s0, s30, s6
	s_mov_b32 s7, s6
	s_addc_u32 s1, s1, s6
	s_xor_b64 s[28:29], s[0:1], s[6:7]
	v_cvt_f32_u32_e32 v2, s28
	v_cvt_f32_u32_e32 v3, s29
	s_sub_u32 s7, 0, s28
	s_subb_u32 s31, 0, s29
	v_ashrrev_i32_e32 v6, 31, v1
	v_madmk_f32 v2, v3, 0x4f800000, v2
	v_rcp_f32_e32 v2, v2
	v_mul_f32_e32 v2, 0x5f7ffffc, v2
	v_mul_f32_e32 v3, 0x2f800000, v2
	v_trunc_f32_e32 v3, v3
	v_madmk_f32 v2, v3, 0xcf800000, v2
	v_cvt_u32_f32_e32 v3, v3
	v_cvt_u32_f32_e32 v2, v2
	v_readfirstlane_b32 s33, v3
	v_readfirstlane_b32 s0, v2
	s_mul_i32 s1, s7, s33
	s_mul_hi_u32 s35, s7, s0
	s_mul_i32 s34, s31, s0
	s_add_i32 s1, s35, s1
	s_add_i32 s1, s1, s34
	s_mul_i32 s36, s7, s0
	s_mul_i32 s35, s0, s1
	s_mul_hi_u32 s37, s0, s36
	s_mul_hi_u32 s34, s0, s1
	s_add_u32 s35, s37, s35
	s_addc_u32 s34, 0, s34
	s_mul_hi_u32 s38, s33, s36
	s_mul_i32 s36, s33, s36
	s_add_u32 s35, s35, s36
	s_mul_hi_u32 s37, s33, s1
	s_addc_u32 s34, s34, s38
	s_addc_u32 s35, s37, 0
	s_mul_i32 s1, s33, s1
	s_add_u32 s1, s34, s1
	s_addc_u32 s34, 0, s35
	s_add_u32 s35, s0, s1
	s_cselect_b64 s[0:1], -1, 0
	s_cmp_lg_u64 s[0:1], 0
	s_addc_u32 s33, s33, s34
	s_mul_i32 s0, s7, s33
	s_mul_hi_u32 s1, s7, s35
	s_add_i32 s0, s1, s0
	s_mul_i32 s31, s31, s35
	s_add_i32 s0, s0, s31
	s_mul_i32 s7, s7, s35
	s_mul_hi_u32 s31, s33, s7
	s_mul_i32 s34, s33, s7
	s_mul_i32 s37, s35, s0
	s_mul_hi_u32 s7, s35, s7
	s_mul_hi_u32 s36, s35, s0
	s_add_u32 s7, s7, s37
	s_addc_u32 s36, 0, s36
	s_add_u32 s7, s7, s34
	s_mul_hi_u32 s1, s33, s0
	s_addc_u32 s7, s36, s31
	s_addc_u32 s1, s1, 0
	s_mul_i32 s0, s33, s0
	s_add_u32 s0, s7, s0
	s_addc_u32 s7, 0, s1
	s_add_u32 s31, s35, s0
	s_cselect_b64 s[0:1], -1, 0
	s_cmp_lg_u64 s[0:1], 0
	v_add_co_u32_e32 v2, vcc, v0, v6
	s_addc_u32 s7, s33, s7
	v_xor_b32_e32 v7, v2, v6
	v_mad_u64_u32 v[2:3], s[0:1], v7, s7, 0
	v_mul_hi_u32 v5, v7, s31
	v_addc_co_u32_e32 v4, vcc, v1, v6, vcc
	v_xor_b32_e32 v8, v4, v6
	v_add_co_u32_e32 v9, vcc, v5, v2
	v_addc_co_u32_e32 v10, vcc, 0, v3, vcc
	v_mad_u64_u32 v[2:3], s[0:1], v8, s31, 0
	v_mad_u64_u32 v[4:5], s[0:1], v8, s7, 0
	v_add_co_u32_e32 v2, vcc, v9, v2
	v_addc_co_u32_e32 v2, vcc, v10, v3, vcc
	v_addc_co_u32_e32 v3, vcc, 0, v5, vcc
	v_add_co_u32_e32 v4, vcc, v2, v4
	v_addc_co_u32_e32 v5, vcc, 0, v3, vcc
	v_mul_lo_u32 v9, s29, v4
	v_mul_lo_u32 v10, s28, v5
	v_mad_u64_u32 v[2:3], s[0:1], s28, v4, 0
	v_add3_u32 v3, v3, v10, v9
	v_sub_u32_e32 v9, v8, v3
	v_mov_b32_e32 v10, s29
	v_sub_co_u32_e32 v2, vcc, v7, v2
	v_subb_co_u32_e64 v7, s[0:1], v9, v10, vcc
	v_subrev_co_u32_e64 v9, s[0:1], s28, v2
	v_subbrev_co_u32_e64 v7, s[0:1], 0, v7, s[0:1]
	v_cmp_le_u32_e64 s[0:1], s29, v7
	v_cndmask_b32_e64 v10, 0, -1, s[0:1]
	v_cmp_le_u32_e64 s[0:1], s28, v9
	v_cndmask_b32_e64 v9, 0, -1, s[0:1]
	v_cmp_eq_u32_e64 s[0:1], s29, v7
	v_cndmask_b32_e64 v7, v10, v9, s[0:1]
	v_add_co_u32_e64 v9, s[0:1], 2, v4
	v_subb_co_u32_e32 v3, vcc, v8, v3, vcc
	v_addc_co_u32_e64 v10, s[0:1], 0, v5, s[0:1]
	v_cmp_le_u32_e32 vcc, s29, v3
	v_add_co_u32_e64 v11, s[0:1], 1, v4
	v_cndmask_b32_e64 v8, 0, -1, vcc
	v_cmp_le_u32_e32 vcc, s28, v2
	v_addc_co_u32_e64 v12, s[0:1], 0, v5, s[0:1]
	v_cndmask_b32_e64 v2, 0, -1, vcc
	v_cmp_eq_u32_e32 vcc, s29, v3
	v_cmp_ne_u32_e64 s[0:1], 0, v7
	v_cndmask_b32_e32 v2, v8, v2, vcc
	v_cndmask_b32_e64 v7, v12, v10, s[0:1]
	v_cmp_ne_u32_e32 vcc, 0, v2
	v_cndmask_b32_e64 v3, v11, v9, s[0:1]
	v_cndmask_b32_e32 v2, v5, v7, vcc
	v_cndmask_b32_e32 v3, v4, v3, vcc
	v_xor_b32_e32 v5, s6, v6
	v_xor_b32_e32 v3, v3, v5
	;; [unrolled: 1-line block ×3, first 2 shown]
	v_sub_co_u32_e32 v4, vcc, v3, v5
	v_subb_co_u32_e32 v5, vcc, v2, v5, vcc
.LBB2_3:
	s_andn2_saveexec_b64 s[0:1], s[2:3]
	s_cbranch_execz .LBB2_5
; %bb.4:
	v_cvt_f32_u32_e32 v2, s30
	s_sub_i32 s2, 0, s30
	v_rcp_iflag_f32_e32 v2, v2
	v_mul_f32_e32 v2, 0x4f7ffffe, v2
	v_cvt_u32_f32_e32 v2, v2
	v_mul_lo_u32 v3, s2, v2
	v_mul_hi_u32 v3, v2, v3
	v_add_u32_e32 v2, v2, v3
	v_mul_hi_u32 v2, v0, v2
	v_mul_lo_u32 v3, v2, s30
	v_add_u32_e32 v4, 1, v2
	v_sub_u32_e32 v3, v0, v3
	v_subrev_u32_e32 v5, s30, v3
	v_cmp_le_u32_e32 vcc, s30, v3
	v_cndmask_b32_e32 v3, v3, v5, vcc
	v_cndmask_b32_e32 v2, v2, v4, vcc
	v_add_u32_e32 v4, 1, v2
	v_cmp_le_u32_e32 vcc, s30, v3
	v_cndmask_b32_e32 v4, v2, v4, vcc
	v_mov_b32_e32 v5, 0
.LBB2_5:
	s_or_b64 exec, exec, s[0:1]
	v_or_b32_e32 v3, s13, v5
	v_mov_b32_e32 v2, 0
	v_cmp_ne_u64_e32 vcc, 0, v[2:3]
                                        ; implicit-def: $vgpr2_vgpr3
	s_and_saveexec_b64 s[0:1], vcc
	s_xor_b64 s[2:3], exec, s[0:1]
	s_cbranch_execz .LBB2_7
; %bb.6:
	v_cvt_f32_u32_e32 v2, s12
	v_cvt_f32_u32_e32 v3, s13
	s_sub_u32 s6, 0, s12
	s_subb_u32 s7, 0, s13
	v_madmk_f32 v2, v3, 0x4f800000, v2
	v_rcp_f32_e32 v2, v2
	v_mul_f32_e32 v2, 0x5f7ffffc, v2
	v_mul_f32_e32 v3, 0x2f800000, v2
	v_trunc_f32_e32 v3, v3
	v_madmk_f32 v2, v3, 0xcf800000, v2
	v_cvt_u32_f32_e32 v3, v3
	v_cvt_u32_f32_e32 v2, v2
	v_readfirstlane_b32 s28, v3
	v_readfirstlane_b32 s0, v2
	s_mul_i32 s1, s6, s28
	s_mul_hi_u32 s30, s6, s0
	s_mul_i32 s29, s7, s0
	s_add_i32 s1, s30, s1
	s_mul_i32 s31, s6, s0
	s_add_i32 s1, s1, s29
	s_mul_i32 s30, s0, s1
	s_mul_hi_u32 s33, s0, s31
	s_mul_hi_u32 s29, s0, s1
	s_add_u32 s30, s33, s30
	s_addc_u32 s29, 0, s29
	s_mul_hi_u32 s34, s28, s31
	s_mul_i32 s31, s28, s31
	s_add_u32 s30, s30, s31
	s_mul_hi_u32 s33, s28, s1
	s_addc_u32 s29, s29, s34
	s_addc_u32 s30, s33, 0
	s_mul_i32 s1, s28, s1
	s_add_u32 s1, s29, s1
	s_addc_u32 s29, 0, s30
	s_add_u32 s30, s0, s1
	s_cselect_b64 s[0:1], -1, 0
	s_cmp_lg_u64 s[0:1], 0
	s_addc_u32 s28, s28, s29
	s_mul_i32 s0, s6, s28
	s_mul_hi_u32 s1, s6, s30
	s_add_i32 s0, s1, s0
	s_mul_i32 s7, s7, s30
	s_add_i32 s0, s0, s7
	s_mul_i32 s6, s6, s30
	s_mul_hi_u32 s7, s28, s6
	s_mul_i32 s29, s28, s6
	s_mul_i32 s33, s30, s0
	s_mul_hi_u32 s6, s30, s6
	s_mul_hi_u32 s31, s30, s0
	s_add_u32 s6, s6, s33
	s_addc_u32 s31, 0, s31
	s_add_u32 s6, s6, s29
	s_mul_hi_u32 s1, s28, s0
	s_addc_u32 s6, s31, s7
	s_addc_u32 s1, s1, 0
	s_mul_i32 s0, s28, s0
	s_add_u32 s0, s6, s0
	s_addc_u32 s6, 0, s1
	s_add_u32 s7, s30, s0
	s_cselect_b64 s[0:1], -1, 0
	s_cmp_lg_u64 s[0:1], 0
	s_addc_u32 s6, s28, s6
	v_mad_u64_u32 v[2:3], s[0:1], v4, s6, 0
	v_mul_hi_u32 v6, v4, s7
	v_add_co_u32_e32 v8, vcc, v6, v2
	v_addc_co_u32_e32 v9, vcc, 0, v3, vcc
	v_mad_u64_u32 v[2:3], s[0:1], v5, s7, 0
	v_mad_u64_u32 v[6:7], s[0:1], v5, s6, 0
	v_add_co_u32_e32 v2, vcc, v8, v2
	v_addc_co_u32_e32 v2, vcc, v9, v3, vcc
	v_addc_co_u32_e32 v3, vcc, 0, v7, vcc
	v_add_co_u32_e32 v2, vcc, v2, v6
	v_addc_co_u32_e32 v3, vcc, 0, v3, vcc
	v_mul_lo_u32 v6, s13, v2
	v_mul_lo_u32 v7, s12, v3
	v_mad_u64_u32 v[2:3], s[0:1], s12, v2, 0
	v_add3_u32 v3, v3, v7, v6
	v_sub_u32_e32 v6, v5, v3
	v_mov_b32_e32 v7, s13
	v_sub_co_u32_e32 v2, vcc, v4, v2
	v_subb_co_u32_e64 v4, s[0:1], v6, v7, vcc
	v_subrev_co_u32_e64 v6, s[0:1], s12, v2
	v_subbrev_co_u32_e64 v4, s[0:1], 0, v4, s[0:1]
	v_cmp_le_u32_e64 s[0:1], s13, v4
	v_subb_co_u32_e32 v3, vcc, v5, v3, vcc
	v_cndmask_b32_e64 v7, 0, -1, s[0:1]
	v_cmp_le_u32_e64 s[0:1], s12, v6
	v_cmp_le_u32_e32 vcc, s13, v3
	v_cndmask_b32_e64 v8, 0, -1, s[0:1]
	v_cmp_eq_u32_e64 s[0:1], s13, v4
	v_cndmask_b32_e64 v5, 0, -1, vcc
	v_cmp_le_u32_e32 vcc, s12, v2
	v_cndmask_b32_e64 v4, v7, v8, s[0:1]
	v_cndmask_b32_e64 v8, 0, -1, vcc
	v_cmp_eq_u32_e32 vcc, s13, v3
	v_subrev_co_u32_e64 v7, s[0:1], s12, v6
	v_cndmask_b32_e32 v3, v5, v8, vcc
	v_cmp_ne_u32_e32 vcc, 0, v4
	v_cndmask_b32_e32 v4, v6, v7, vcc
	v_cmp_ne_u32_e32 vcc, 0, v3
	v_cndmask_b32_e32 v2, v2, v4, vcc
                                        ; implicit-def: $vgpr4_vgpr5
.LBB2_7:
	s_andn2_saveexec_b64 s[0:1], s[2:3]
	s_cbranch_execz .LBB2_9
; %bb.8:
	v_cvt_f32_u32_e32 v2, s12
	s_sub_i32 s2, 0, s12
	v_rcp_iflag_f32_e32 v2, v2
	v_mul_f32_e32 v2, 0x4f7ffffe, v2
	v_cvt_u32_f32_e32 v2, v2
	v_mul_lo_u32 v3, s2, v2
	v_mul_hi_u32 v3, v2, v3
	v_add_u32_e32 v2, v2, v3
	v_mul_hi_u32 v2, v4, v2
	v_mul_lo_u32 v2, v2, s12
	v_sub_u32_e32 v2, v4, v2
	v_subrev_u32_e32 v3, s12, v2
	v_cmp_le_u32_e32 vcc, s12, v2
	v_cndmask_b32_e32 v2, v2, v3, vcc
	v_subrev_u32_e32 v3, s12, v2
	v_cmp_le_u32_e32 vcc, s12, v2
	v_cndmask_b32_e32 v2, v2, v3, vcc
.LBB2_9:
	s_or_b64 exec, exec, s[0:1]
	v_cvt_f32_u32_e32 v12, s24
	v_cvt_f32_u32_e32 v13, s25
	v_or_b32_e32 v4, s25, v1
	v_mov_b32_e32 v3, 0
	v_cmp_ne_u64_e32 vcc, 0, v[3:4]
                                        ; implicit-def: $vgpr3_vgpr4
	s_and_saveexec_b64 s[0:1], vcc
	s_xor_b64 s[2:3], exec, s[0:1]
	s_cbranch_execz .LBB2_11
; %bb.10:
	v_madmk_f32 v3, v13, 0x4f800000, v12
	v_rcp_f32_e32 v3, v3
	s_sub_u32 s6, 0, s24
	s_subb_u32 s7, 0, s25
	v_mul_f32_e32 v3, 0x5f7ffffc, v3
	v_mul_f32_e32 v4, 0x2f800000, v3
	v_trunc_f32_e32 v4, v4
	v_madmk_f32 v3, v4, 0xcf800000, v3
	v_cvt_u32_f32_e32 v4, v4
	v_cvt_u32_f32_e32 v3, v3
	v_readfirstlane_b32 s28, v4
	v_readfirstlane_b32 s0, v3
	s_mul_i32 s1, s6, s28
	s_mul_hi_u32 s30, s6, s0
	s_mul_i32 s29, s7, s0
	s_add_i32 s1, s30, s1
	s_add_i32 s1, s1, s29
	s_mul_i32 s31, s6, s0
	s_mul_i32 s30, s0, s1
	s_mul_hi_u32 s33, s0, s31
	s_mul_hi_u32 s29, s0, s1
	s_add_u32 s30, s33, s30
	s_addc_u32 s29, 0, s29
	s_mul_hi_u32 s34, s28, s31
	s_mul_i32 s31, s28, s31
	s_add_u32 s30, s30, s31
	s_mul_hi_u32 s33, s28, s1
	s_addc_u32 s29, s29, s34
	s_addc_u32 s30, s33, 0
	s_mul_i32 s1, s28, s1
	s_add_u32 s1, s29, s1
	s_addc_u32 s29, 0, s30
	s_add_u32 s30, s0, s1
	s_cselect_b64 s[0:1], -1, 0
	s_cmp_lg_u64 s[0:1], 0
	s_addc_u32 s28, s28, s29
	s_mul_i32 s0, s6, s28
	s_mul_hi_u32 s1, s6, s30
	s_add_i32 s0, s1, s0
	s_mul_i32 s7, s7, s30
	s_add_i32 s0, s0, s7
	s_mul_i32 s6, s6, s30
	s_mul_hi_u32 s7, s28, s6
	s_mul_i32 s29, s28, s6
	s_mul_i32 s33, s30, s0
	s_mul_hi_u32 s6, s30, s6
	s_mul_hi_u32 s31, s30, s0
	s_add_u32 s6, s6, s33
	s_addc_u32 s31, 0, s31
	s_add_u32 s6, s6, s29
	s_mul_hi_u32 s1, s28, s0
	s_addc_u32 s6, s31, s7
	s_addc_u32 s1, s1, 0
	s_mul_i32 s0, s28, s0
	s_add_u32 s0, s6, s0
	s_addc_u32 s6, 0, s1
	s_add_u32 s7, s30, s0
	s_cselect_b64 s[0:1], -1, 0
	s_cmp_lg_u64 s[0:1], 0
	s_addc_u32 s6, s28, s6
	v_mad_u64_u32 v[3:4], s[0:1], v0, s6, 0
	v_mul_hi_u32 v5, v0, s7
	v_add_co_u32_e32 v7, vcc, v5, v3
	v_addc_co_u32_e32 v8, vcc, 0, v4, vcc
	v_mad_u64_u32 v[3:4], s[0:1], v1, s7, 0
	v_mad_u64_u32 v[5:6], s[0:1], v1, s6, 0
	v_add_co_u32_e32 v3, vcc, v7, v3
	v_addc_co_u32_e32 v3, vcc, v8, v4, vcc
	v_addc_co_u32_e32 v4, vcc, 0, v6, vcc
	v_add_co_u32_e32 v5, vcc, v3, v5
	v_addc_co_u32_e32 v6, vcc, 0, v4, vcc
	v_mul_lo_u32 v7, s25, v5
	v_mul_lo_u32 v8, s24, v6
	v_mad_u64_u32 v[3:4], s[0:1], s24, v5, 0
	v_add3_u32 v4, v4, v8, v7
	v_sub_u32_e32 v7, v1, v4
	v_mov_b32_e32 v8, s25
	v_sub_co_u32_e32 v3, vcc, v0, v3
	v_subb_co_u32_e64 v7, s[0:1], v7, v8, vcc
	v_subrev_co_u32_e64 v8, s[0:1], s24, v3
	v_subbrev_co_u32_e64 v7, s[0:1], 0, v7, s[0:1]
	v_cmp_le_u32_e64 s[0:1], s25, v7
	v_cndmask_b32_e64 v9, 0, -1, s[0:1]
	v_cmp_le_u32_e64 s[0:1], s24, v8
	v_cndmask_b32_e64 v8, 0, -1, s[0:1]
	v_cmp_eq_u32_e64 s[0:1], s25, v7
	v_cndmask_b32_e64 v7, v9, v8, s[0:1]
	v_add_co_u32_e64 v8, s[0:1], 2, v5
	v_addc_co_u32_e64 v9, s[0:1], 0, v6, s[0:1]
	v_add_co_u32_e64 v10, s[0:1], 1, v5
	v_addc_co_u32_e64 v11, s[0:1], 0, v6, s[0:1]
	v_subb_co_u32_e32 v4, vcc, v1, v4, vcc
	v_cmp_ne_u32_e64 s[0:1], 0, v7
	v_cmp_le_u32_e32 vcc, s25, v4
	v_cndmask_b32_e64 v7, v11, v9, s[0:1]
	v_cndmask_b32_e64 v9, 0, -1, vcc
	v_cmp_le_u32_e32 vcc, s24, v3
	v_cndmask_b32_e64 v3, 0, -1, vcc
	v_cmp_eq_u32_e32 vcc, s25, v4
	v_cndmask_b32_e32 v3, v9, v3, vcc
	v_cmp_ne_u32_e32 vcc, 0, v3
	v_cndmask_b32_e64 v3, v10, v8, s[0:1]
	v_cndmask_b32_e32 v4, v6, v7, vcc
	v_cndmask_b32_e32 v3, v5, v3, vcc
.LBB2_11:
	s_or_saveexec_b64 s[0:1], s[2:3]
	v_cvt_f32_u32_e32 v14, s24
	s_xor_b64 exec, exec, s[0:1]
	s_cbranch_execz .LBB2_13
; %bb.12:
	v_rcp_iflag_f32_e32 v3, v14
	s_sub_i32 s2, 0, s24
	v_mul_f32_e32 v3, 0x4f7ffffe, v3
	v_cvt_u32_f32_e32 v3, v3
	v_mul_lo_u32 v4, s2, v3
	v_mul_hi_u32 v4, v3, v4
	v_add_u32_e32 v3, v3, v4
	v_mul_hi_u32 v3, v0, v3
	v_mul_lo_u32 v4, v3, s24
	v_add_u32_e32 v5, 1, v3
	v_sub_u32_e32 v4, v0, v4
	v_subrev_u32_e32 v6, s24, v4
	v_cmp_le_u32_e32 vcc, s24, v4
	v_cndmask_b32_e32 v4, v4, v6, vcc
	v_cndmask_b32_e32 v3, v3, v5, vcc
	v_add_u32_e32 v5, 1, v3
	v_cmp_le_u32_e32 vcc, s24, v4
	v_cndmask_b32_e32 v3, v3, v5, vcc
	v_mov_b32_e32 v4, 0
.LBB2_13:
	s_or_b64 exec, exec, s[0:1]
	v_cvt_f32_u32_e32 v9, s22
	v_cvt_f32_u32_e32 v10, s23
	v_or_b32_e32 v6, s23, v1
	v_mov_b32_e32 v5, 0
	v_cmp_ne_u64_e32 vcc, 0, v[5:6]
                                        ; implicit-def: $vgpr5_vgpr6
	s_and_saveexec_b64 s[0:1], vcc
	s_xor_b64 s[2:3], exec, s[0:1]
	s_cbranch_execz .LBB2_15
; %bb.14:
	v_madmk_f32 v5, v10, 0x4f800000, v9
	v_rcp_f32_e32 v5, v5
	s_sub_u32 s6, 0, s22
	s_subb_u32 s7, 0, s23
	v_mul_f32_e32 v5, 0x5f7ffffc, v5
	v_mul_f32_e32 v6, 0x2f800000, v5
	v_trunc_f32_e32 v6, v6
	v_madmk_f32 v5, v6, 0xcf800000, v5
	v_cvt_u32_f32_e32 v6, v6
	v_cvt_u32_f32_e32 v5, v5
	v_readfirstlane_b32 s28, v6
	v_readfirstlane_b32 s0, v5
	s_mul_i32 s1, s6, s28
	s_mul_hi_u32 s30, s6, s0
	s_mul_i32 s29, s7, s0
	s_add_i32 s1, s30, s1
	s_add_i32 s1, s1, s29
	s_mul_i32 s31, s6, s0
	s_mul_i32 s30, s0, s1
	s_mul_hi_u32 s33, s0, s31
	s_mul_hi_u32 s29, s0, s1
	s_add_u32 s30, s33, s30
	s_addc_u32 s29, 0, s29
	s_mul_hi_u32 s34, s28, s31
	s_mul_i32 s31, s28, s31
	s_add_u32 s30, s30, s31
	s_mul_hi_u32 s33, s28, s1
	s_addc_u32 s29, s29, s34
	s_addc_u32 s30, s33, 0
	s_mul_i32 s1, s28, s1
	s_add_u32 s1, s29, s1
	s_addc_u32 s29, 0, s30
	s_add_u32 s30, s0, s1
	s_cselect_b64 s[0:1], -1, 0
	s_cmp_lg_u64 s[0:1], 0
	s_addc_u32 s28, s28, s29
	s_mul_i32 s0, s6, s28
	s_mul_hi_u32 s1, s6, s30
	s_add_i32 s0, s1, s0
	s_mul_i32 s7, s7, s30
	s_add_i32 s0, s0, s7
	s_mul_i32 s6, s6, s30
	s_mul_hi_u32 s7, s28, s6
	s_mul_i32 s29, s28, s6
	s_mul_i32 s33, s30, s0
	s_mul_hi_u32 s6, s30, s6
	s_mul_hi_u32 s31, s30, s0
	s_add_u32 s6, s6, s33
	s_addc_u32 s31, 0, s31
	s_add_u32 s6, s6, s29
	s_mul_hi_u32 s1, s28, s0
	s_addc_u32 s6, s31, s7
	s_addc_u32 s1, s1, 0
	s_mul_i32 s0, s28, s0
	s_add_u32 s0, s6, s0
	s_addc_u32 s6, 0, s1
	s_add_u32 s7, s30, s0
	s_cselect_b64 s[0:1], -1, 0
	s_cmp_lg_u64 s[0:1], 0
	s_addc_u32 s6, s28, s6
	v_mad_u64_u32 v[5:6], s[0:1], v0, s6, 0
	v_mul_hi_u32 v7, v0, s7
	v_add_co_u32_e32 v11, vcc, v7, v5
	v_addc_co_u32_e32 v15, vcc, 0, v6, vcc
	v_mad_u64_u32 v[5:6], s[0:1], v1, s7, 0
	v_mad_u64_u32 v[7:8], s[0:1], v1, s6, 0
	v_add_co_u32_e32 v5, vcc, v11, v5
	v_addc_co_u32_e32 v5, vcc, v15, v6, vcc
	v_addc_co_u32_e32 v6, vcc, 0, v8, vcc
	v_add_co_u32_e32 v7, vcc, v5, v7
	v_addc_co_u32_e32 v8, vcc, 0, v6, vcc
	v_mul_lo_u32 v11, s23, v7
	v_mul_lo_u32 v15, s22, v8
	v_mad_u64_u32 v[5:6], s[0:1], s22, v7, 0
	v_add3_u32 v6, v6, v15, v11
	v_sub_u32_e32 v11, v1, v6
	v_mov_b32_e32 v15, s23
	v_sub_co_u32_e32 v5, vcc, v0, v5
	v_subb_co_u32_e64 v11, s[0:1], v11, v15, vcc
	v_subrev_co_u32_e64 v15, s[0:1], s22, v5
	v_subbrev_co_u32_e64 v11, s[0:1], 0, v11, s[0:1]
	v_cmp_le_u32_e64 s[0:1], s23, v11
	v_cndmask_b32_e64 v16, 0, -1, s[0:1]
	v_cmp_le_u32_e64 s[0:1], s22, v15
	v_cndmask_b32_e64 v15, 0, -1, s[0:1]
	v_cmp_eq_u32_e64 s[0:1], s23, v11
	v_cndmask_b32_e64 v11, v16, v15, s[0:1]
	v_add_co_u32_e64 v15, s[0:1], 2, v7
	v_addc_co_u32_e64 v16, s[0:1], 0, v8, s[0:1]
	v_add_co_u32_e64 v17, s[0:1], 1, v7
	v_addc_co_u32_e64 v18, s[0:1], 0, v8, s[0:1]
	v_subb_co_u32_e32 v6, vcc, v1, v6, vcc
	v_cmp_ne_u32_e64 s[0:1], 0, v11
	v_cmp_le_u32_e32 vcc, s23, v6
	v_cndmask_b32_e64 v11, v18, v16, s[0:1]
	v_cndmask_b32_e64 v16, 0, -1, vcc
	v_cmp_le_u32_e32 vcc, s22, v5
	v_cndmask_b32_e64 v5, 0, -1, vcc
	v_cmp_eq_u32_e32 vcc, s23, v6
	v_cndmask_b32_e32 v5, v16, v5, vcc
	v_cmp_ne_u32_e32 vcc, 0, v5
	v_cndmask_b32_e64 v5, v17, v15, s[0:1]
	v_cndmask_b32_e32 v6, v8, v11, vcc
	v_cndmask_b32_e32 v5, v7, v5, vcc
.LBB2_15:
	s_or_saveexec_b64 s[0:1], s[2:3]
	v_cvt_f32_u32_e32 v11, s22
	s_xor_b64 exec, exec, s[0:1]
	s_cbranch_execz .LBB2_17
; %bb.16:
	v_rcp_iflag_f32_e32 v5, v11
	s_sub_i32 s2, 0, s22
	v_mul_f32_e32 v5, 0x4f7ffffe, v5
	v_cvt_u32_f32_e32 v5, v5
	v_mul_lo_u32 v6, s2, v5
	v_mul_hi_u32 v6, v5, v6
	v_add_u32_e32 v5, v5, v6
	v_mul_hi_u32 v5, v0, v5
	v_mul_lo_u32 v6, v5, s22
	v_add_u32_e32 v7, 1, v5
	v_sub_u32_e32 v6, v0, v6
	v_subrev_u32_e32 v8, s22, v6
	v_cmp_le_u32_e32 vcc, s22, v6
	v_cndmask_b32_e32 v6, v6, v8, vcc
	v_cndmask_b32_e32 v5, v5, v7, vcc
	v_add_u32_e32 v7, 1, v5
	v_cmp_le_u32_e32 vcc, s22, v6
	v_cndmask_b32_e32 v5, v5, v7, vcc
	v_mov_b32_e32 v6, 0
.LBB2_17:
	s_or_b64 exec, exec, s[0:1]
	v_or_b32_e32 v8, s25, v6
	v_mov_b32_e32 v7, 0
	v_cmp_ne_u64_e32 vcc, 0, v[7:8]
                                        ; implicit-def: $vgpr7_vgpr8
	s_and_saveexec_b64 s[0:1], vcc
	s_xor_b64 s[2:3], exec, s[0:1]
	s_cbranch_execz .LBB2_19
; %bb.18:
	v_madmk_f32 v7, v13, 0x4f800000, v12
	v_rcp_f32_e32 v7, v7
	s_sub_u32 s6, 0, s24
	s_subb_u32 s7, 0, s25
	v_mul_f32_e32 v7, 0x5f7ffffc, v7
	v_mul_f32_e32 v8, 0x2f800000, v7
	v_trunc_f32_e32 v8, v8
	v_madmk_f32 v7, v8, 0xcf800000, v7
	v_cvt_u32_f32_e32 v8, v8
	v_cvt_u32_f32_e32 v7, v7
	v_readfirstlane_b32 s28, v8
	v_readfirstlane_b32 s0, v7
	s_mul_i32 s1, s6, s28
	s_mul_hi_u32 s30, s6, s0
	s_mul_i32 s29, s7, s0
	s_add_i32 s1, s30, s1
	s_add_i32 s1, s1, s29
	s_mul_i32 s31, s6, s0
	s_mul_i32 s30, s0, s1
	s_mul_hi_u32 s33, s0, s31
	s_mul_hi_u32 s29, s0, s1
	s_add_u32 s30, s33, s30
	s_addc_u32 s29, 0, s29
	s_mul_hi_u32 s34, s28, s31
	s_mul_i32 s31, s28, s31
	s_add_u32 s30, s30, s31
	s_mul_hi_u32 s33, s28, s1
	s_addc_u32 s29, s29, s34
	s_addc_u32 s30, s33, 0
	s_mul_i32 s1, s28, s1
	s_add_u32 s1, s29, s1
	s_addc_u32 s29, 0, s30
	s_add_u32 s30, s0, s1
	s_cselect_b64 s[0:1], -1, 0
	s_cmp_lg_u64 s[0:1], 0
	s_addc_u32 s28, s28, s29
	s_mul_i32 s0, s6, s28
	s_mul_hi_u32 s1, s6, s30
	s_add_i32 s0, s1, s0
	s_mul_i32 s7, s7, s30
	s_add_i32 s0, s0, s7
	s_mul_i32 s6, s6, s30
	s_mul_hi_u32 s7, s28, s6
	s_mul_i32 s29, s28, s6
	s_mul_i32 s33, s30, s0
	s_mul_hi_u32 s6, s30, s6
	s_mul_hi_u32 s31, s30, s0
	s_add_u32 s6, s6, s33
	s_addc_u32 s31, 0, s31
	s_add_u32 s6, s6, s29
	s_mul_hi_u32 s1, s28, s0
	s_addc_u32 s6, s31, s7
	s_addc_u32 s1, s1, 0
	s_mul_i32 s0, s28, s0
	s_add_u32 s0, s6, s0
	s_addc_u32 s6, 0, s1
	s_add_u32 s7, s30, s0
	s_cselect_b64 s[0:1], -1, 0
	s_cmp_lg_u64 s[0:1], 0
	s_addc_u32 s6, s28, s6
	v_mad_u64_u32 v[7:8], s[0:1], v5, s6, 0
	v_mul_hi_u32 v12, v5, s7
	v_add_co_u32_e32 v14, vcc, v12, v7
	v_addc_co_u32_e32 v15, vcc, 0, v8, vcc
	v_mad_u64_u32 v[7:8], s[0:1], v6, s7, 0
	v_mad_u64_u32 v[12:13], s[0:1], v6, s6, 0
	v_add_co_u32_e32 v7, vcc, v14, v7
	v_addc_co_u32_e32 v7, vcc, v15, v8, vcc
	v_addc_co_u32_e32 v8, vcc, 0, v13, vcc
	v_add_co_u32_e32 v12, vcc, v7, v12
	v_addc_co_u32_e32 v13, vcc, 0, v8, vcc
	v_mul_lo_u32 v14, s25, v12
	v_mul_lo_u32 v15, s24, v13
	v_mad_u64_u32 v[7:8], s[0:1], s24, v12, 0
	v_add3_u32 v8, v8, v15, v14
	v_sub_u32_e32 v14, v6, v8
	v_mov_b32_e32 v15, s25
	v_sub_co_u32_e32 v5, vcc, v5, v7
	v_subb_co_u32_e64 v7, s[0:1], v14, v15, vcc
	v_subrev_co_u32_e64 v14, s[0:1], s24, v5
	v_subbrev_co_u32_e64 v7, s[0:1], 0, v7, s[0:1]
	v_cmp_le_u32_e64 s[0:1], s25, v7
	v_cndmask_b32_e64 v15, 0, -1, s[0:1]
	v_cmp_le_u32_e64 s[0:1], s24, v14
	v_cndmask_b32_e64 v14, 0, -1, s[0:1]
	v_cmp_eq_u32_e64 s[0:1], s25, v7
	v_cndmask_b32_e64 v7, v15, v14, s[0:1]
	v_add_co_u32_e64 v14, s[0:1], 2, v12
	v_subb_co_u32_e32 v6, vcc, v6, v8, vcc
	v_addc_co_u32_e64 v15, s[0:1], 0, v13, s[0:1]
	v_cmp_le_u32_e32 vcc, s25, v6
	v_add_co_u32_e64 v16, s[0:1], 1, v12
	v_cndmask_b32_e64 v8, 0, -1, vcc
	v_cmp_le_u32_e32 vcc, s24, v5
	v_addc_co_u32_e64 v17, s[0:1], 0, v13, s[0:1]
	v_cndmask_b32_e64 v5, 0, -1, vcc
	v_cmp_eq_u32_e32 vcc, s25, v6
	v_cmp_ne_u32_e64 s[0:1], 0, v7
	v_cndmask_b32_e32 v5, v8, v5, vcc
	v_cndmask_b32_e64 v7, v17, v15, s[0:1]
	v_cmp_ne_u32_e32 vcc, 0, v5
	v_cndmask_b32_e64 v5, v16, v14, s[0:1]
	v_cndmask_b32_e32 v8, v13, v7, vcc
	v_cndmask_b32_e32 v7, v12, v5, vcc
                                        ; implicit-def: $vgpr14
                                        ; implicit-def: $vgpr5_vgpr6
.LBB2_19:
	s_andn2_saveexec_b64 s[0:1], s[2:3]
	s_cbranch_execz .LBB2_21
; %bb.20:
	v_rcp_iflag_f32_e32 v6, v14
	s_sub_i32 s2, 0, s24
	v_mul_f32_e32 v6, 0x4f7ffffe, v6
	v_cvt_u32_f32_e32 v6, v6
	v_mul_lo_u32 v7, s2, v6
	v_mul_hi_u32 v7, v6, v7
	v_add_u32_e32 v6, v6, v7
	v_mul_hi_u32 v6, v5, v6
	v_mul_lo_u32 v7, v6, s24
	v_add_u32_e32 v8, 1, v6
	v_sub_u32_e32 v5, v5, v7
	v_subrev_u32_e32 v7, s24, v5
	v_cmp_le_u32_e32 vcc, s24, v5
	v_cndmask_b32_e32 v5, v5, v7, vcc
	v_cndmask_b32_e32 v6, v6, v8, vcc
	v_add_u32_e32 v7, 1, v6
	v_cmp_le_u32_e32 vcc, s24, v5
	v_cndmask_b32_e32 v7, v6, v7, vcc
	v_mov_b32_e32 v8, 0
.LBB2_21:
	s_or_b64 exec, exec, s[0:1]
	v_or_b32_e32 v6, s21, v8
	v_mov_b32_e32 v5, 0
	v_cmp_ne_u64_e32 vcc, 0, v[5:6]
                                        ; implicit-def: $vgpr5_vgpr6
	s_and_saveexec_b64 s[0:1], vcc
	s_xor_b64 s[2:3], exec, s[0:1]
	s_cbranch_execz .LBB2_23
; %bb.22:
	v_cvt_f32_u32_e32 v5, s20
	v_cvt_f32_u32_e32 v6, s21
	s_sub_u32 s6, 0, s20
	s_subb_u32 s7, 0, s21
	v_madmk_f32 v5, v6, 0x4f800000, v5
	v_rcp_f32_e32 v5, v5
	v_mul_f32_e32 v5, 0x5f7ffffc, v5
	v_mul_f32_e32 v6, 0x2f800000, v5
	v_trunc_f32_e32 v6, v6
	v_madmk_f32 v5, v6, 0xcf800000, v5
	v_cvt_u32_f32_e32 v6, v6
	v_cvt_u32_f32_e32 v5, v5
	v_readfirstlane_b32 s28, v6
	v_readfirstlane_b32 s0, v5
	s_mul_i32 s1, s6, s28
	s_mul_hi_u32 s30, s6, s0
	s_mul_i32 s29, s7, s0
	s_add_i32 s1, s30, s1
	s_mul_i32 s31, s6, s0
	s_add_i32 s1, s1, s29
	s_mul_i32 s30, s0, s1
	s_mul_hi_u32 s33, s0, s31
	s_mul_hi_u32 s29, s0, s1
	s_add_u32 s30, s33, s30
	s_addc_u32 s29, 0, s29
	s_mul_hi_u32 s34, s28, s31
	s_mul_i32 s31, s28, s31
	s_add_u32 s30, s30, s31
	s_mul_hi_u32 s33, s28, s1
	s_addc_u32 s29, s29, s34
	s_addc_u32 s30, s33, 0
	s_mul_i32 s1, s28, s1
	s_add_u32 s1, s29, s1
	s_addc_u32 s29, 0, s30
	s_add_u32 s30, s0, s1
	s_cselect_b64 s[0:1], -1, 0
	s_cmp_lg_u64 s[0:1], 0
	s_addc_u32 s28, s28, s29
	s_mul_i32 s0, s6, s28
	s_mul_hi_u32 s1, s6, s30
	s_add_i32 s0, s1, s0
	s_mul_i32 s7, s7, s30
	s_add_i32 s0, s0, s7
	s_mul_i32 s6, s6, s30
	s_mul_hi_u32 s7, s28, s6
	s_mul_i32 s29, s28, s6
	s_mul_i32 s33, s30, s0
	s_mul_hi_u32 s6, s30, s6
	s_mul_hi_u32 s31, s30, s0
	s_add_u32 s6, s6, s33
	s_addc_u32 s31, 0, s31
	s_add_u32 s6, s6, s29
	s_mul_hi_u32 s1, s28, s0
	s_addc_u32 s6, s31, s7
	s_addc_u32 s1, s1, 0
	s_mul_i32 s0, s28, s0
	s_add_u32 s0, s6, s0
	s_addc_u32 s6, 0, s1
	s_add_u32 s7, s30, s0
	s_cselect_b64 s[0:1], -1, 0
	s_cmp_lg_u64 s[0:1], 0
	s_addc_u32 s6, s28, s6
	v_mad_u64_u32 v[5:6], s[0:1], v7, s6, 0
	v_mul_hi_u32 v12, v7, s7
	v_add_co_u32_e32 v14, vcc, v12, v5
	v_addc_co_u32_e32 v15, vcc, 0, v6, vcc
	v_mad_u64_u32 v[5:6], s[0:1], v8, s7, 0
	v_mad_u64_u32 v[12:13], s[0:1], v8, s6, 0
	v_add_co_u32_e32 v5, vcc, v14, v5
	v_addc_co_u32_e32 v5, vcc, v15, v6, vcc
	v_addc_co_u32_e32 v6, vcc, 0, v13, vcc
	v_add_co_u32_e32 v5, vcc, v5, v12
	v_addc_co_u32_e32 v6, vcc, 0, v6, vcc
	v_mul_lo_u32 v12, s21, v5
	v_mul_lo_u32 v13, s20, v6
	v_mad_u64_u32 v[5:6], s[0:1], s20, v5, 0
	v_add3_u32 v6, v6, v13, v12
	v_sub_u32_e32 v12, v8, v6
	v_mov_b32_e32 v13, s21
	v_sub_co_u32_e32 v5, vcc, v7, v5
	v_subb_co_u32_e64 v7, s[0:1], v12, v13, vcc
	v_subrev_co_u32_e64 v12, s[0:1], s20, v5
	v_subbrev_co_u32_e64 v7, s[0:1], 0, v7, s[0:1]
	v_cmp_le_u32_e64 s[0:1], s21, v7
	v_subb_co_u32_e32 v6, vcc, v8, v6, vcc
	v_cndmask_b32_e64 v13, 0, -1, s[0:1]
	v_cmp_le_u32_e64 s[0:1], s20, v12
	v_cmp_le_u32_e32 vcc, s21, v6
	v_cndmask_b32_e64 v14, 0, -1, s[0:1]
	v_cmp_eq_u32_e64 s[0:1], s21, v7
	v_cndmask_b32_e64 v8, 0, -1, vcc
	v_cmp_le_u32_e32 vcc, s20, v5
	v_cndmask_b32_e64 v7, v13, v14, s[0:1]
	v_cndmask_b32_e64 v14, 0, -1, vcc
	v_cmp_eq_u32_e32 vcc, s21, v6
	v_subrev_co_u32_e64 v13, s[0:1], s20, v12
	v_cndmask_b32_e32 v6, v8, v14, vcc
	v_cmp_ne_u32_e32 vcc, 0, v7
	v_cndmask_b32_e32 v7, v12, v13, vcc
	v_cmp_ne_u32_e32 vcc, 0, v6
	v_cndmask_b32_e32 v5, v5, v7, vcc
                                        ; implicit-def: $vgpr7_vgpr8
.LBB2_23:
	s_andn2_saveexec_b64 s[0:1], s[2:3]
	s_cbranch_execz .LBB2_25
; %bb.24:
	v_cvt_f32_u32_e32 v5, s20
	s_sub_i32 s2, 0, s20
	v_rcp_iflag_f32_e32 v5, v5
	v_mul_f32_e32 v5, 0x4f7ffffe, v5
	v_cvt_u32_f32_e32 v5, v5
	v_mul_lo_u32 v6, s2, v5
	v_mul_hi_u32 v6, v5, v6
	v_add_u32_e32 v5, v5, v6
	v_mul_hi_u32 v5, v7, v5
	v_mul_lo_u32 v5, v5, s20
	v_sub_u32_e32 v5, v7, v5
	v_subrev_u32_e32 v6, s20, v5
	v_cmp_le_u32_e32 vcc, s20, v5
	v_cndmask_b32_e32 v5, v5, v6, vcc
	v_subrev_u32_e32 v6, s20, v5
	v_cmp_le_u32_e32 vcc, s20, v5
	v_cndmask_b32_e32 v5, v5, v6, vcc
.LBB2_25:
	s_or_b64 exec, exec, s[0:1]
	v_or_b32_e32 v7, s23, v4
	v_mov_b32_e32 v6, 0
	v_cmp_ne_u64_e32 vcc, 0, v[6:7]
                                        ; implicit-def: $vgpr6_vgpr7
	s_and_saveexec_b64 s[0:1], vcc
	s_xor_b64 s[2:3], exec, s[0:1]
	s_cbranch_execz .LBB2_27
; %bb.26:
	v_madmk_f32 v6, v10, 0x4f800000, v9
	v_rcp_f32_e32 v6, v6
	s_sub_u32 s6, 0, s22
	s_subb_u32 s7, 0, s23
	v_mul_f32_e32 v6, 0x5f7ffffc, v6
	v_mul_f32_e32 v7, 0x2f800000, v6
	v_trunc_f32_e32 v7, v7
	v_madmk_f32 v6, v7, 0xcf800000, v6
	v_cvt_u32_f32_e32 v7, v7
	v_cvt_u32_f32_e32 v6, v6
	v_readfirstlane_b32 s28, v7
	v_readfirstlane_b32 s0, v6
	s_mul_i32 s1, s6, s28
	s_mul_hi_u32 s30, s6, s0
	s_mul_i32 s29, s7, s0
	s_add_i32 s1, s30, s1
	s_add_i32 s1, s1, s29
	s_mul_i32 s31, s6, s0
	s_mul_i32 s30, s0, s1
	s_mul_hi_u32 s33, s0, s31
	s_mul_hi_u32 s29, s0, s1
	s_add_u32 s30, s33, s30
	s_addc_u32 s29, 0, s29
	s_mul_hi_u32 s34, s28, s31
	s_mul_i32 s31, s28, s31
	s_add_u32 s30, s30, s31
	s_mul_hi_u32 s33, s28, s1
	s_addc_u32 s29, s29, s34
	s_addc_u32 s30, s33, 0
	s_mul_i32 s1, s28, s1
	s_add_u32 s1, s29, s1
	s_addc_u32 s29, 0, s30
	s_add_u32 s30, s0, s1
	s_cselect_b64 s[0:1], -1, 0
	s_cmp_lg_u64 s[0:1], 0
	s_addc_u32 s28, s28, s29
	s_mul_i32 s0, s6, s28
	s_mul_hi_u32 s1, s6, s30
	s_add_i32 s0, s1, s0
	s_mul_i32 s7, s7, s30
	s_add_i32 s0, s0, s7
	s_mul_i32 s6, s6, s30
	s_mul_hi_u32 s7, s28, s6
	s_mul_i32 s29, s28, s6
	s_mul_i32 s33, s30, s0
	s_mul_hi_u32 s6, s30, s6
	s_mul_hi_u32 s31, s30, s0
	s_add_u32 s6, s6, s33
	s_addc_u32 s31, 0, s31
	s_add_u32 s6, s6, s29
	s_mul_hi_u32 s1, s28, s0
	s_addc_u32 s6, s31, s7
	s_addc_u32 s1, s1, 0
	s_mul_i32 s0, s28, s0
	s_add_u32 s0, s6, s0
	s_addc_u32 s6, 0, s1
	s_add_u32 s7, s30, s0
	s_cselect_b64 s[0:1], -1, 0
	s_cmp_lg_u64 s[0:1], 0
	s_addc_u32 s6, s28, s6
	v_mad_u64_u32 v[6:7], s[0:1], v3, s6, 0
	v_mul_hi_u32 v8, v3, s7
	v_add_co_u32_e32 v10, vcc, v8, v6
	v_addc_co_u32_e32 v11, vcc, 0, v7, vcc
	v_mad_u64_u32 v[6:7], s[0:1], v4, s7, 0
	v_mad_u64_u32 v[8:9], s[0:1], v4, s6, 0
	v_add_co_u32_e32 v6, vcc, v10, v6
	v_addc_co_u32_e32 v6, vcc, v11, v7, vcc
	v_addc_co_u32_e32 v7, vcc, 0, v9, vcc
	v_add_co_u32_e32 v6, vcc, v6, v8
	v_addc_co_u32_e32 v7, vcc, 0, v7, vcc
	v_mul_lo_u32 v8, s23, v6
	v_mul_lo_u32 v9, s22, v7
	v_mad_u64_u32 v[6:7], s[0:1], s22, v6, 0
	v_add3_u32 v7, v7, v9, v8
	v_sub_u32_e32 v8, v4, v7
	v_mov_b32_e32 v9, s23
	v_sub_co_u32_e32 v6, vcc, v3, v6
	v_subb_co_u32_e64 v8, s[0:1], v8, v9, vcc
	v_subrev_co_u32_e64 v9, s[0:1], s22, v6
	v_subbrev_co_u32_e64 v8, s[0:1], 0, v8, s[0:1]
	v_cmp_le_u32_e64 s[0:1], s23, v8
	v_subb_co_u32_e32 v4, vcc, v4, v7, vcc
	v_cndmask_b32_e64 v10, 0, -1, s[0:1]
	v_cmp_le_u32_e64 s[0:1], s22, v9
	v_cmp_le_u32_e32 vcc, s23, v4
	v_cndmask_b32_e64 v11, 0, -1, s[0:1]
	v_cmp_eq_u32_e64 s[0:1], s23, v8
	v_cndmask_b32_e64 v7, 0, -1, vcc
	v_cmp_le_u32_e32 vcc, s22, v6
	v_cndmask_b32_e64 v8, v10, v11, s[0:1]
	v_cndmask_b32_e64 v11, 0, -1, vcc
	v_cmp_eq_u32_e32 vcc, s23, v4
	v_subrev_co_u32_e64 v10, s[0:1], s22, v9
	v_cndmask_b32_e32 v4, v7, v11, vcc
	v_cmp_ne_u32_e32 vcc, 0, v8
	v_cndmask_b32_e32 v7, v9, v10, vcc
	v_cmp_ne_u32_e32 vcc, 0, v4
	v_cndmask_b32_e32 v6, v6, v7, vcc
                                        ; implicit-def: $vgpr11
.LBB2_27:
	s_andn2_saveexec_b64 s[0:1], s[2:3]
	s_cbranch_execz .LBB2_29
; %bb.28:
	v_rcp_iflag_f32_e32 v4, v11
	s_sub_i32 s2, 0, s22
	v_mul_f32_e32 v4, 0x4f7ffffe, v4
	v_cvt_u32_f32_e32 v4, v4
	v_mul_lo_u32 v6, s2, v4
	v_mul_hi_u32 v6, v4, v6
	v_add_u32_e32 v4, v4, v6
	v_mul_hi_u32 v4, v3, v4
	v_mul_lo_u32 v4, v4, s22
	v_sub_u32_e32 v4, v3, v4
	v_subrev_u32_e32 v6, s22, v4
	v_cmp_le_u32_e32 vcc, s22, v4
	v_cndmask_b32_e32 v4, v4, v6, vcc
	v_subrev_u32_e32 v6, s22, v4
	v_cmp_le_u32_e32 vcc, s22, v4
	v_cndmask_b32_e32 v6, v4, v6, vcc
.LBB2_29:
	s_or_b64 exec, exec, s[0:1]
	s_load_dwordx4 s[0:3], s[4:5], 0x50
	v_mul_lo_u32 v3, v3, s24
	v_cvt_f32_i32_e32 v4, v5
	v_cvt_f32_i32_e32 v6, v6
	s_waitcnt lgkmcnt(0)
	s_add_i32 s3, s14, -1
	v_sub_u32_e32 v3, v0, v3
	v_mul_f32_e32 v4, s0, v4
	v_cvt_f32_i32_e32 v3, v3
	v_floor_f32_e32 v4, v4
	v_cvt_i32_f32_e32 v4, v4
	s_mul_i32 s4, s18, s17
	v_mul_f32_e32 v3, s2, v3
	s_mul_hi_u32 s0, s18, s16
	v_floor_f32_e32 v3, v3
	s_mul_i32 s5, s19, s16
	s_add_i32 s0, s0, s4
	v_min_i32_e32 v7, s3, v4
	s_mul_i32 s3, s18, s16
	v_cvt_i32_f32_e32 v3, v3
	s_add_i32 s0, s0, s5
	s_mul_i32 s4, s3, s15
	s_mul_hi_u32 s5, s3, s14
	s_add_i32 s4, s5, s4
	s_mul_i32 s0, s0, s14
	v_mul_f32_e32 v6, s1, v6
	s_add_i32 s4, s4, s0
	s_add_i32 s0, s18, -1
	v_floor_f32_e32 v6, v6
	v_min_i32_e32 v3, s0, v3
	v_cvt_i32_f32_e32 v6, v6
	s_mul_i32 s2, s3, s14
	v_ashrrev_i32_e32 v4, 31, v3
	v_ashrrev_i32_e32 v5, 31, v2
	v_mul_lo_u32 v9, v2, s4
	v_mad_u64_u32 v[2:3], s[0:1], v2, s2, v[3:4]
	s_add_i32 s0, s16, -1
	v_min_i32_e32 v4, s0, v6
	v_mul_lo_u32 v10, v5, s2
	v_ashrrev_i32_e32 v5, 31, v4
	v_mad_u64_u32 v[4:5], s[0:1], s16, v7, v[4:5]
	v_add3_u32 v3, v10, v3, v9
	v_ashrrev_i32_e32 v8, 31, v7
	v_mad_u64_u32 v[2:3], s[0:1], v4, s18, v[2:3]
	s_mul_i32 s0, s2, s13
	s_mul_hi_u32 s1, s2, s12
	s_mul_i32 s4, s4, s12
	s_add_i32 s0, s1, s0
	v_mul_lo_u32 v6, s16, v8
	v_mul_lo_u32 v7, s17, v7
	s_add_i32 s7, s0, s4
	s_mul_i32 s0, s24, s23
	s_mul_hi_u32 s1, s24, s22
	s_add_i32 s0, s1, s0
	s_mul_i32 s1, s25, s22
	s_add_i32 s0, s0, s1
	s_mul_i32 s1, s24, s22
	s_mul_i32 s6, s2, s12
	;; [unrolled: 1-line block ×3, first 2 shown]
	s_mul_hi_u32 s3, s1, s20
	v_add3_u32 v5, v7, v5, v6
	s_add_i32 s2, s3, s2
	s_mul_i32 s0, s0, s20
	v_mul_lo_u32 v5, v5, s18
	v_mul_lo_u32 v4, v4, s19
	s_add_i32 s0, s2, s0
	s_mul_i32 s2, s1, s20
	s_mul_i32 s1, s2, s13
	s_mul_hi_u32 s3, s2, s12
	v_lshlrev_b64 v[0:1], 1, v[0:1]
	s_mul_i32 s0, s0, s12
	s_add_i32 s1, s3, s1
	s_add_i32 s1, s1, s0
	s_mul_i32 s0, s2, s12
	v_add3_u32 v3, v5, v3, v4
	v_mov_b32_e32 v4, s27
	v_add_co_u32_e32 v0, vcc, s26, v0
	s_lshl_b64 s[2:3], s[0:1], 1
	v_addc_co_u32_e32 v1, vcc, v4, v1, vcc
	s_mov_b64 s[4:5], 0
	v_mov_b32_e32 v4, s9
	v_mov_b32_e32 v5, s7
	;; [unrolled: 1-line block ×3, first 2 shown]
.LBB2_30:                               ; =>This Inner Loop Header: Depth=1
	v_lshlrev_b64 v[7:8], 1, v[2:3]
	s_add_u32 s4, s4, 1
	v_add_co_u32_e32 v7, vcc, s8, v7
	v_addc_co_u32_e32 v8, vcc, v4, v8, vcc
	global_load_ushort v9, v[7:8], off
	s_addc_u32 s5, s5, 0
	v_add_co_u32_e32 v2, vcc, s6, v2
	v_mov_b32_e32 v8, s5
	v_addc_co_u32_e32 v3, vcc, v3, v5, vcc
	v_mov_b32_e32 v7, s4
	v_cmp_gt_u64_e32 vcc, s[10:11], v[7:8]
	s_and_b64 vcc, exec, vcc
	s_waitcnt vmcnt(0)
	global_store_short v[0:1], v9, off
	v_add_co_u32_e64 v0, s[0:1], s2, v0
	v_addc_co_u32_e64 v1, s[0:1], v1, v6, s[0:1]
	s_cbranch_vccnz .LBB2_30
.LBB2_31:
	s_endpgm
	.section	.rodata,"a",@progbits
	.p2align	6, 0x0
	.amdhsa_kernel _ZN2at6native12_GLOBAL__N_128upsample_nearest3d_out_frameIN3c104HalfEXadL_ZNS0_37nearest_neighbor_compute_source_indexEfiiEEEEvPKT_mmmmmmmmPS5_fff
		.amdhsa_group_segment_fixed_size 0
		.amdhsa_private_segment_fixed_size 0
		.amdhsa_kernarg_size 352
		.amdhsa_user_sgpr_count 6
		.amdhsa_user_sgpr_private_segment_buffer 1
		.amdhsa_user_sgpr_dispatch_ptr 0
		.amdhsa_user_sgpr_queue_ptr 0
		.amdhsa_user_sgpr_kernarg_segment_ptr 1
		.amdhsa_user_sgpr_dispatch_id 0
		.amdhsa_user_sgpr_flat_scratch_init 0
		.amdhsa_user_sgpr_private_segment_size 0
		.amdhsa_uses_dynamic_stack 0
		.amdhsa_system_sgpr_private_segment_wavefront_offset 0
		.amdhsa_system_sgpr_workgroup_id_x 1
		.amdhsa_system_sgpr_workgroup_id_y 0
		.amdhsa_system_sgpr_workgroup_id_z 0
		.amdhsa_system_sgpr_workgroup_info 0
		.amdhsa_system_vgpr_workitem_id 0
		.amdhsa_next_free_vgpr 19
		.amdhsa_next_free_sgpr 39
		.amdhsa_reserve_vcc 1
		.amdhsa_reserve_flat_scratch 0
		.amdhsa_float_round_mode_32 0
		.amdhsa_float_round_mode_16_64 0
		.amdhsa_float_denorm_mode_32 3
		.amdhsa_float_denorm_mode_16_64 3
		.amdhsa_dx10_clamp 1
		.amdhsa_ieee_mode 1
		.amdhsa_fp16_overflow 0
		.amdhsa_exception_fp_ieee_invalid_op 0
		.amdhsa_exception_fp_denorm_src 0
		.amdhsa_exception_fp_ieee_div_zero 0
		.amdhsa_exception_fp_ieee_overflow 0
		.amdhsa_exception_fp_ieee_underflow 0
		.amdhsa_exception_fp_ieee_inexact 0
		.amdhsa_exception_int_div_zero 0
	.end_amdhsa_kernel
	.section	.text._ZN2at6native12_GLOBAL__N_128upsample_nearest3d_out_frameIN3c104HalfEXadL_ZNS0_37nearest_neighbor_compute_source_indexEfiiEEEEvPKT_mmmmmmmmPS5_fff,"axG",@progbits,_ZN2at6native12_GLOBAL__N_128upsample_nearest3d_out_frameIN3c104HalfEXadL_ZNS0_37nearest_neighbor_compute_source_indexEfiiEEEEvPKT_mmmmmmmmPS5_fff,comdat
.Lfunc_end2:
	.size	_ZN2at6native12_GLOBAL__N_128upsample_nearest3d_out_frameIN3c104HalfEXadL_ZNS0_37nearest_neighbor_compute_source_indexEfiiEEEEvPKT_mmmmmmmmPS5_fff, .Lfunc_end2-_ZN2at6native12_GLOBAL__N_128upsample_nearest3d_out_frameIN3c104HalfEXadL_ZNS0_37nearest_neighbor_compute_source_indexEfiiEEEEvPKT_mmmmmmmmPS5_fff
                                        ; -- End function
	.set _ZN2at6native12_GLOBAL__N_128upsample_nearest3d_out_frameIN3c104HalfEXadL_ZNS0_37nearest_neighbor_compute_source_indexEfiiEEEEvPKT_mmmmmmmmPS5_fff.num_vgpr, 19
	.set _ZN2at6native12_GLOBAL__N_128upsample_nearest3d_out_frameIN3c104HalfEXadL_ZNS0_37nearest_neighbor_compute_source_indexEfiiEEEEvPKT_mmmmmmmmPS5_fff.num_agpr, 0
	.set _ZN2at6native12_GLOBAL__N_128upsample_nearest3d_out_frameIN3c104HalfEXadL_ZNS0_37nearest_neighbor_compute_source_indexEfiiEEEEvPKT_mmmmmmmmPS5_fff.numbered_sgpr, 39
	.set _ZN2at6native12_GLOBAL__N_128upsample_nearest3d_out_frameIN3c104HalfEXadL_ZNS0_37nearest_neighbor_compute_source_indexEfiiEEEEvPKT_mmmmmmmmPS5_fff.num_named_barrier, 0
	.set _ZN2at6native12_GLOBAL__N_128upsample_nearest3d_out_frameIN3c104HalfEXadL_ZNS0_37nearest_neighbor_compute_source_indexEfiiEEEEvPKT_mmmmmmmmPS5_fff.private_seg_size, 0
	.set _ZN2at6native12_GLOBAL__N_128upsample_nearest3d_out_frameIN3c104HalfEXadL_ZNS0_37nearest_neighbor_compute_source_indexEfiiEEEEvPKT_mmmmmmmmPS5_fff.uses_vcc, 1
	.set _ZN2at6native12_GLOBAL__N_128upsample_nearest3d_out_frameIN3c104HalfEXadL_ZNS0_37nearest_neighbor_compute_source_indexEfiiEEEEvPKT_mmmmmmmmPS5_fff.uses_flat_scratch, 0
	.set _ZN2at6native12_GLOBAL__N_128upsample_nearest3d_out_frameIN3c104HalfEXadL_ZNS0_37nearest_neighbor_compute_source_indexEfiiEEEEvPKT_mmmmmmmmPS5_fff.has_dyn_sized_stack, 0
	.set _ZN2at6native12_GLOBAL__N_128upsample_nearest3d_out_frameIN3c104HalfEXadL_ZNS0_37nearest_neighbor_compute_source_indexEfiiEEEEvPKT_mmmmmmmmPS5_fff.has_recursion, 0
	.set _ZN2at6native12_GLOBAL__N_128upsample_nearest3d_out_frameIN3c104HalfEXadL_ZNS0_37nearest_neighbor_compute_source_indexEfiiEEEEvPKT_mmmmmmmmPS5_fff.has_indirect_call, 0
	.section	.AMDGPU.csdata,"",@progbits
; Kernel info:
; codeLenInByte = 5348
; TotalNumSgprs: 43
; NumVgprs: 19
; ScratchSize: 0
; MemoryBound: 0
; FloatMode: 240
; IeeeMode: 1
; LDSByteSize: 0 bytes/workgroup (compile time only)
; SGPRBlocks: 5
; VGPRBlocks: 4
; NumSGPRsForWavesPerEU: 43
; NumVGPRsForWavesPerEU: 19
; Occupancy: 10
; WaveLimiterHint : 0
; COMPUTE_PGM_RSRC2:SCRATCH_EN: 0
; COMPUTE_PGM_RSRC2:USER_SGPR: 6
; COMPUTE_PGM_RSRC2:TRAP_HANDLER: 0
; COMPUTE_PGM_RSRC2:TGID_X_EN: 1
; COMPUTE_PGM_RSRC2:TGID_Y_EN: 0
; COMPUTE_PGM_RSRC2:TGID_Z_EN: 0
; COMPUTE_PGM_RSRC2:TIDIG_COMP_CNT: 0
	.section	.text._ZN2at6native12_GLOBAL__N_128upsample_nearest3d_out_frameIN3c108BFloat16EXadL_ZNS0_37nearest_neighbor_compute_source_indexEfiiEEEEvPKT_mmmmmmmmPS5_fff,"axG",@progbits,_ZN2at6native12_GLOBAL__N_128upsample_nearest3d_out_frameIN3c108BFloat16EXadL_ZNS0_37nearest_neighbor_compute_source_indexEfiiEEEEvPKT_mmmmmmmmPS5_fff,comdat
	.globl	_ZN2at6native12_GLOBAL__N_128upsample_nearest3d_out_frameIN3c108BFloat16EXadL_ZNS0_37nearest_neighbor_compute_source_indexEfiiEEEEvPKT_mmmmmmmmPS5_fff ; -- Begin function _ZN2at6native12_GLOBAL__N_128upsample_nearest3d_out_frameIN3c108BFloat16EXadL_ZNS0_37nearest_neighbor_compute_source_indexEfiiEEEEvPKT_mmmmmmmmPS5_fff
	.p2align	8
	.type	_ZN2at6native12_GLOBAL__N_128upsample_nearest3d_out_frameIN3c108BFloat16EXadL_ZNS0_37nearest_neighbor_compute_source_indexEfiiEEEEvPKT_mmmmmmmmPS5_fff,@function
_ZN2at6native12_GLOBAL__N_128upsample_nearest3d_out_frameIN3c108BFloat16EXadL_ZNS0_37nearest_neighbor_compute_source_indexEfiiEEEEvPKT_mmmmmmmmPS5_fff: ; @_ZN2at6native12_GLOBAL__N_128upsample_nearest3d_out_frameIN3c108BFloat16EXadL_ZNS0_37nearest_neighbor_compute_source_indexEfiiEEEEvPKT_mmmmmmmmPS5_fff
; %bb.0:
	s_load_dword s0, s[4:5], 0x6c
	s_load_dwordx4 s[24:27], s[4:5], 0x40
	s_load_dwordx16 s[8:23], s[4:5], 0x0
	v_mov_b32_e32 v2, 0
	v_mov_b32_e32 v1, v2
	s_waitcnt lgkmcnt(0)
	s_and_b32 s0, s0, 0xffff
	v_mov_b32_e32 v3, s6
	v_mad_u64_u32 v[0:1], s[0:1], s0, v3, v[0:1]
	s_mul_i32 s0, s22, s21
	s_mul_hi_u32 s1, s22, s20
	s_add_i32 s1, s1, s0
	s_mul_i32 s0, s23, s20
	s_add_i32 s1, s1, s0
	s_mul_i32 s0, s22, s20
	s_mul_i32 s2, s0, s13
	s_mul_hi_u32 s3, s0, s12
	s_add_i32 s2, s3, s2
	s_mul_i32 s3, s1, s12
	s_mul_i32 s6, s0, s12
	s_add_i32 s2, s2, s3
	s_mul_i32 s3, s6, s25
	s_mul_hi_u32 s7, s6, s24
	s_mul_i32 s2, s2, s24
	s_add_i32 s3, s7, s3
	s_add_i32 s3, s3, s2
	s_mul_i32 s2, s6, s24
	v_cmp_gt_u64_e32 vcc, s[2:3], v[0:1]
	s_cmp_lg_u64 s[10:11], 0
	s_cselect_b64 s[2:3], -1, 0
	s_and_b64 s[2:3], vcc, s[2:3]
	s_and_saveexec_b64 s[6:7], s[2:3]
	s_cbranch_execz .LBB3_31
; %bb.1:
	s_mul_i32 s2, s0, s25
	s_mul_hi_u32 s3, s0, s24
	s_add_i32 s2, s3, s2
	s_mul_i32 s1, s1, s24
	s_add_i32 s1, s2, s1
	v_or_b32_e32 v3, s1, v1
	v_cmp_ne_u64_e32 vcc, 0, v[2:3]
	s_mul_i32 s30, s0, s24
                                        ; implicit-def: $vgpr4_vgpr5
	s_and_saveexec_b64 s[2:3], vcc
	s_xor_b64 s[2:3], exec, s[2:3]
	s_cbranch_execz .LBB3_3
; %bb.2:
	s_ashr_i32 s6, s1, 31
	s_add_u32 s0, s30, s6
	s_mov_b32 s7, s6
	s_addc_u32 s1, s1, s6
	s_xor_b64 s[28:29], s[0:1], s[6:7]
	v_cvt_f32_u32_e32 v2, s28
	v_cvt_f32_u32_e32 v3, s29
	s_sub_u32 s7, 0, s28
	s_subb_u32 s31, 0, s29
	v_ashrrev_i32_e32 v6, 31, v1
	v_madmk_f32 v2, v3, 0x4f800000, v2
	v_rcp_f32_e32 v2, v2
	v_mul_f32_e32 v2, 0x5f7ffffc, v2
	v_mul_f32_e32 v3, 0x2f800000, v2
	v_trunc_f32_e32 v3, v3
	v_madmk_f32 v2, v3, 0xcf800000, v2
	v_cvt_u32_f32_e32 v3, v3
	v_cvt_u32_f32_e32 v2, v2
	v_readfirstlane_b32 s33, v3
	v_readfirstlane_b32 s0, v2
	s_mul_i32 s1, s7, s33
	s_mul_hi_u32 s35, s7, s0
	s_mul_i32 s34, s31, s0
	s_add_i32 s1, s35, s1
	s_add_i32 s1, s1, s34
	s_mul_i32 s36, s7, s0
	s_mul_i32 s35, s0, s1
	s_mul_hi_u32 s37, s0, s36
	s_mul_hi_u32 s34, s0, s1
	s_add_u32 s35, s37, s35
	s_addc_u32 s34, 0, s34
	s_mul_hi_u32 s38, s33, s36
	s_mul_i32 s36, s33, s36
	s_add_u32 s35, s35, s36
	s_mul_hi_u32 s37, s33, s1
	s_addc_u32 s34, s34, s38
	s_addc_u32 s35, s37, 0
	s_mul_i32 s1, s33, s1
	s_add_u32 s1, s34, s1
	s_addc_u32 s34, 0, s35
	s_add_u32 s35, s0, s1
	s_cselect_b64 s[0:1], -1, 0
	s_cmp_lg_u64 s[0:1], 0
	s_addc_u32 s33, s33, s34
	s_mul_i32 s0, s7, s33
	s_mul_hi_u32 s1, s7, s35
	s_add_i32 s0, s1, s0
	s_mul_i32 s31, s31, s35
	s_add_i32 s0, s0, s31
	s_mul_i32 s7, s7, s35
	s_mul_hi_u32 s31, s33, s7
	s_mul_i32 s34, s33, s7
	s_mul_i32 s37, s35, s0
	s_mul_hi_u32 s7, s35, s7
	s_mul_hi_u32 s36, s35, s0
	s_add_u32 s7, s7, s37
	s_addc_u32 s36, 0, s36
	s_add_u32 s7, s7, s34
	s_mul_hi_u32 s1, s33, s0
	s_addc_u32 s7, s36, s31
	s_addc_u32 s1, s1, 0
	s_mul_i32 s0, s33, s0
	s_add_u32 s0, s7, s0
	s_addc_u32 s7, 0, s1
	s_add_u32 s31, s35, s0
	s_cselect_b64 s[0:1], -1, 0
	s_cmp_lg_u64 s[0:1], 0
	v_add_co_u32_e32 v2, vcc, v0, v6
	s_addc_u32 s7, s33, s7
	v_xor_b32_e32 v7, v2, v6
	v_mad_u64_u32 v[2:3], s[0:1], v7, s7, 0
	v_mul_hi_u32 v5, v7, s31
	v_addc_co_u32_e32 v4, vcc, v1, v6, vcc
	v_xor_b32_e32 v8, v4, v6
	v_add_co_u32_e32 v9, vcc, v5, v2
	v_addc_co_u32_e32 v10, vcc, 0, v3, vcc
	v_mad_u64_u32 v[2:3], s[0:1], v8, s31, 0
	v_mad_u64_u32 v[4:5], s[0:1], v8, s7, 0
	v_add_co_u32_e32 v2, vcc, v9, v2
	v_addc_co_u32_e32 v2, vcc, v10, v3, vcc
	v_addc_co_u32_e32 v3, vcc, 0, v5, vcc
	v_add_co_u32_e32 v4, vcc, v2, v4
	v_addc_co_u32_e32 v5, vcc, 0, v3, vcc
	v_mul_lo_u32 v9, s29, v4
	v_mul_lo_u32 v10, s28, v5
	v_mad_u64_u32 v[2:3], s[0:1], s28, v4, 0
	v_add3_u32 v3, v3, v10, v9
	v_sub_u32_e32 v9, v8, v3
	v_mov_b32_e32 v10, s29
	v_sub_co_u32_e32 v2, vcc, v7, v2
	v_subb_co_u32_e64 v7, s[0:1], v9, v10, vcc
	v_subrev_co_u32_e64 v9, s[0:1], s28, v2
	v_subbrev_co_u32_e64 v7, s[0:1], 0, v7, s[0:1]
	v_cmp_le_u32_e64 s[0:1], s29, v7
	v_cndmask_b32_e64 v10, 0, -1, s[0:1]
	v_cmp_le_u32_e64 s[0:1], s28, v9
	v_cndmask_b32_e64 v9, 0, -1, s[0:1]
	v_cmp_eq_u32_e64 s[0:1], s29, v7
	v_cndmask_b32_e64 v7, v10, v9, s[0:1]
	v_add_co_u32_e64 v9, s[0:1], 2, v4
	v_subb_co_u32_e32 v3, vcc, v8, v3, vcc
	v_addc_co_u32_e64 v10, s[0:1], 0, v5, s[0:1]
	v_cmp_le_u32_e32 vcc, s29, v3
	v_add_co_u32_e64 v11, s[0:1], 1, v4
	v_cndmask_b32_e64 v8, 0, -1, vcc
	v_cmp_le_u32_e32 vcc, s28, v2
	v_addc_co_u32_e64 v12, s[0:1], 0, v5, s[0:1]
	v_cndmask_b32_e64 v2, 0, -1, vcc
	v_cmp_eq_u32_e32 vcc, s29, v3
	v_cmp_ne_u32_e64 s[0:1], 0, v7
	v_cndmask_b32_e32 v2, v8, v2, vcc
	v_cndmask_b32_e64 v7, v12, v10, s[0:1]
	v_cmp_ne_u32_e32 vcc, 0, v2
	v_cndmask_b32_e64 v3, v11, v9, s[0:1]
	v_cndmask_b32_e32 v2, v5, v7, vcc
	v_cndmask_b32_e32 v3, v4, v3, vcc
	v_xor_b32_e32 v5, s6, v6
	v_xor_b32_e32 v3, v3, v5
	;; [unrolled: 1-line block ×3, first 2 shown]
	v_sub_co_u32_e32 v4, vcc, v3, v5
	v_subb_co_u32_e32 v5, vcc, v2, v5, vcc
.LBB3_3:
	s_andn2_saveexec_b64 s[0:1], s[2:3]
	s_cbranch_execz .LBB3_5
; %bb.4:
	v_cvt_f32_u32_e32 v2, s30
	s_sub_i32 s2, 0, s30
	v_rcp_iflag_f32_e32 v2, v2
	v_mul_f32_e32 v2, 0x4f7ffffe, v2
	v_cvt_u32_f32_e32 v2, v2
	v_mul_lo_u32 v3, s2, v2
	v_mul_hi_u32 v3, v2, v3
	v_add_u32_e32 v2, v2, v3
	v_mul_hi_u32 v2, v0, v2
	v_mul_lo_u32 v3, v2, s30
	v_add_u32_e32 v4, 1, v2
	v_sub_u32_e32 v3, v0, v3
	v_subrev_u32_e32 v5, s30, v3
	v_cmp_le_u32_e32 vcc, s30, v3
	v_cndmask_b32_e32 v3, v3, v5, vcc
	v_cndmask_b32_e32 v2, v2, v4, vcc
	v_add_u32_e32 v4, 1, v2
	v_cmp_le_u32_e32 vcc, s30, v3
	v_cndmask_b32_e32 v4, v2, v4, vcc
	v_mov_b32_e32 v5, 0
.LBB3_5:
	s_or_b64 exec, exec, s[0:1]
	v_or_b32_e32 v3, s13, v5
	v_mov_b32_e32 v2, 0
	v_cmp_ne_u64_e32 vcc, 0, v[2:3]
                                        ; implicit-def: $vgpr2_vgpr3
	s_and_saveexec_b64 s[0:1], vcc
	s_xor_b64 s[2:3], exec, s[0:1]
	s_cbranch_execz .LBB3_7
; %bb.6:
	v_cvt_f32_u32_e32 v2, s12
	v_cvt_f32_u32_e32 v3, s13
	s_sub_u32 s6, 0, s12
	s_subb_u32 s7, 0, s13
	v_madmk_f32 v2, v3, 0x4f800000, v2
	v_rcp_f32_e32 v2, v2
	v_mul_f32_e32 v2, 0x5f7ffffc, v2
	v_mul_f32_e32 v3, 0x2f800000, v2
	v_trunc_f32_e32 v3, v3
	v_madmk_f32 v2, v3, 0xcf800000, v2
	v_cvt_u32_f32_e32 v3, v3
	v_cvt_u32_f32_e32 v2, v2
	v_readfirstlane_b32 s28, v3
	v_readfirstlane_b32 s0, v2
	s_mul_i32 s1, s6, s28
	s_mul_hi_u32 s30, s6, s0
	s_mul_i32 s29, s7, s0
	s_add_i32 s1, s30, s1
	s_mul_i32 s31, s6, s0
	s_add_i32 s1, s1, s29
	s_mul_i32 s30, s0, s1
	s_mul_hi_u32 s33, s0, s31
	s_mul_hi_u32 s29, s0, s1
	s_add_u32 s30, s33, s30
	s_addc_u32 s29, 0, s29
	s_mul_hi_u32 s34, s28, s31
	s_mul_i32 s31, s28, s31
	s_add_u32 s30, s30, s31
	s_mul_hi_u32 s33, s28, s1
	s_addc_u32 s29, s29, s34
	s_addc_u32 s30, s33, 0
	s_mul_i32 s1, s28, s1
	s_add_u32 s1, s29, s1
	s_addc_u32 s29, 0, s30
	s_add_u32 s30, s0, s1
	s_cselect_b64 s[0:1], -1, 0
	s_cmp_lg_u64 s[0:1], 0
	s_addc_u32 s28, s28, s29
	s_mul_i32 s0, s6, s28
	s_mul_hi_u32 s1, s6, s30
	s_add_i32 s0, s1, s0
	s_mul_i32 s7, s7, s30
	s_add_i32 s0, s0, s7
	s_mul_i32 s6, s6, s30
	s_mul_hi_u32 s7, s28, s6
	s_mul_i32 s29, s28, s6
	s_mul_i32 s33, s30, s0
	s_mul_hi_u32 s6, s30, s6
	s_mul_hi_u32 s31, s30, s0
	s_add_u32 s6, s6, s33
	s_addc_u32 s31, 0, s31
	s_add_u32 s6, s6, s29
	s_mul_hi_u32 s1, s28, s0
	s_addc_u32 s6, s31, s7
	s_addc_u32 s1, s1, 0
	s_mul_i32 s0, s28, s0
	s_add_u32 s0, s6, s0
	s_addc_u32 s6, 0, s1
	s_add_u32 s7, s30, s0
	s_cselect_b64 s[0:1], -1, 0
	s_cmp_lg_u64 s[0:1], 0
	s_addc_u32 s6, s28, s6
	v_mad_u64_u32 v[2:3], s[0:1], v4, s6, 0
	v_mul_hi_u32 v6, v4, s7
	v_add_co_u32_e32 v8, vcc, v6, v2
	v_addc_co_u32_e32 v9, vcc, 0, v3, vcc
	v_mad_u64_u32 v[2:3], s[0:1], v5, s7, 0
	v_mad_u64_u32 v[6:7], s[0:1], v5, s6, 0
	v_add_co_u32_e32 v2, vcc, v8, v2
	v_addc_co_u32_e32 v2, vcc, v9, v3, vcc
	v_addc_co_u32_e32 v3, vcc, 0, v7, vcc
	v_add_co_u32_e32 v2, vcc, v2, v6
	v_addc_co_u32_e32 v3, vcc, 0, v3, vcc
	v_mul_lo_u32 v6, s13, v2
	v_mul_lo_u32 v7, s12, v3
	v_mad_u64_u32 v[2:3], s[0:1], s12, v2, 0
	v_add3_u32 v3, v3, v7, v6
	v_sub_u32_e32 v6, v5, v3
	v_mov_b32_e32 v7, s13
	v_sub_co_u32_e32 v2, vcc, v4, v2
	v_subb_co_u32_e64 v4, s[0:1], v6, v7, vcc
	v_subrev_co_u32_e64 v6, s[0:1], s12, v2
	v_subbrev_co_u32_e64 v4, s[0:1], 0, v4, s[0:1]
	v_cmp_le_u32_e64 s[0:1], s13, v4
	v_subb_co_u32_e32 v3, vcc, v5, v3, vcc
	v_cndmask_b32_e64 v7, 0, -1, s[0:1]
	v_cmp_le_u32_e64 s[0:1], s12, v6
	v_cmp_le_u32_e32 vcc, s13, v3
	v_cndmask_b32_e64 v8, 0, -1, s[0:1]
	v_cmp_eq_u32_e64 s[0:1], s13, v4
	v_cndmask_b32_e64 v5, 0, -1, vcc
	v_cmp_le_u32_e32 vcc, s12, v2
	v_cndmask_b32_e64 v4, v7, v8, s[0:1]
	v_cndmask_b32_e64 v8, 0, -1, vcc
	v_cmp_eq_u32_e32 vcc, s13, v3
	v_subrev_co_u32_e64 v7, s[0:1], s12, v6
	v_cndmask_b32_e32 v3, v5, v8, vcc
	v_cmp_ne_u32_e32 vcc, 0, v4
	v_cndmask_b32_e32 v4, v6, v7, vcc
	v_cmp_ne_u32_e32 vcc, 0, v3
	v_cndmask_b32_e32 v2, v2, v4, vcc
                                        ; implicit-def: $vgpr4_vgpr5
.LBB3_7:
	s_andn2_saveexec_b64 s[0:1], s[2:3]
	s_cbranch_execz .LBB3_9
; %bb.8:
	v_cvt_f32_u32_e32 v2, s12
	s_sub_i32 s2, 0, s12
	v_rcp_iflag_f32_e32 v2, v2
	v_mul_f32_e32 v2, 0x4f7ffffe, v2
	v_cvt_u32_f32_e32 v2, v2
	v_mul_lo_u32 v3, s2, v2
	v_mul_hi_u32 v3, v2, v3
	v_add_u32_e32 v2, v2, v3
	v_mul_hi_u32 v2, v4, v2
	v_mul_lo_u32 v2, v2, s12
	v_sub_u32_e32 v2, v4, v2
	v_subrev_u32_e32 v3, s12, v2
	v_cmp_le_u32_e32 vcc, s12, v2
	v_cndmask_b32_e32 v2, v2, v3, vcc
	v_subrev_u32_e32 v3, s12, v2
	v_cmp_le_u32_e32 vcc, s12, v2
	v_cndmask_b32_e32 v2, v2, v3, vcc
.LBB3_9:
	s_or_b64 exec, exec, s[0:1]
	v_cvt_f32_u32_e32 v12, s24
	v_cvt_f32_u32_e32 v13, s25
	v_or_b32_e32 v4, s25, v1
	v_mov_b32_e32 v3, 0
	v_cmp_ne_u64_e32 vcc, 0, v[3:4]
                                        ; implicit-def: $vgpr3_vgpr4
	s_and_saveexec_b64 s[0:1], vcc
	s_xor_b64 s[2:3], exec, s[0:1]
	s_cbranch_execz .LBB3_11
; %bb.10:
	v_madmk_f32 v3, v13, 0x4f800000, v12
	v_rcp_f32_e32 v3, v3
	s_sub_u32 s6, 0, s24
	s_subb_u32 s7, 0, s25
	v_mul_f32_e32 v3, 0x5f7ffffc, v3
	v_mul_f32_e32 v4, 0x2f800000, v3
	v_trunc_f32_e32 v4, v4
	v_madmk_f32 v3, v4, 0xcf800000, v3
	v_cvt_u32_f32_e32 v4, v4
	v_cvt_u32_f32_e32 v3, v3
	v_readfirstlane_b32 s28, v4
	v_readfirstlane_b32 s0, v3
	s_mul_i32 s1, s6, s28
	s_mul_hi_u32 s30, s6, s0
	s_mul_i32 s29, s7, s0
	s_add_i32 s1, s30, s1
	s_add_i32 s1, s1, s29
	s_mul_i32 s31, s6, s0
	s_mul_i32 s30, s0, s1
	s_mul_hi_u32 s33, s0, s31
	s_mul_hi_u32 s29, s0, s1
	s_add_u32 s30, s33, s30
	s_addc_u32 s29, 0, s29
	s_mul_hi_u32 s34, s28, s31
	s_mul_i32 s31, s28, s31
	s_add_u32 s30, s30, s31
	s_mul_hi_u32 s33, s28, s1
	s_addc_u32 s29, s29, s34
	s_addc_u32 s30, s33, 0
	s_mul_i32 s1, s28, s1
	s_add_u32 s1, s29, s1
	s_addc_u32 s29, 0, s30
	s_add_u32 s30, s0, s1
	s_cselect_b64 s[0:1], -1, 0
	s_cmp_lg_u64 s[0:1], 0
	s_addc_u32 s28, s28, s29
	s_mul_i32 s0, s6, s28
	s_mul_hi_u32 s1, s6, s30
	s_add_i32 s0, s1, s0
	s_mul_i32 s7, s7, s30
	s_add_i32 s0, s0, s7
	s_mul_i32 s6, s6, s30
	s_mul_hi_u32 s7, s28, s6
	s_mul_i32 s29, s28, s6
	s_mul_i32 s33, s30, s0
	s_mul_hi_u32 s6, s30, s6
	s_mul_hi_u32 s31, s30, s0
	s_add_u32 s6, s6, s33
	s_addc_u32 s31, 0, s31
	s_add_u32 s6, s6, s29
	s_mul_hi_u32 s1, s28, s0
	s_addc_u32 s6, s31, s7
	s_addc_u32 s1, s1, 0
	s_mul_i32 s0, s28, s0
	s_add_u32 s0, s6, s0
	s_addc_u32 s6, 0, s1
	s_add_u32 s7, s30, s0
	s_cselect_b64 s[0:1], -1, 0
	s_cmp_lg_u64 s[0:1], 0
	s_addc_u32 s6, s28, s6
	v_mad_u64_u32 v[3:4], s[0:1], v0, s6, 0
	v_mul_hi_u32 v5, v0, s7
	v_add_co_u32_e32 v7, vcc, v5, v3
	v_addc_co_u32_e32 v8, vcc, 0, v4, vcc
	v_mad_u64_u32 v[3:4], s[0:1], v1, s7, 0
	v_mad_u64_u32 v[5:6], s[0:1], v1, s6, 0
	v_add_co_u32_e32 v3, vcc, v7, v3
	v_addc_co_u32_e32 v3, vcc, v8, v4, vcc
	v_addc_co_u32_e32 v4, vcc, 0, v6, vcc
	v_add_co_u32_e32 v5, vcc, v3, v5
	v_addc_co_u32_e32 v6, vcc, 0, v4, vcc
	v_mul_lo_u32 v7, s25, v5
	v_mul_lo_u32 v8, s24, v6
	v_mad_u64_u32 v[3:4], s[0:1], s24, v5, 0
	v_add3_u32 v4, v4, v8, v7
	v_sub_u32_e32 v7, v1, v4
	v_mov_b32_e32 v8, s25
	v_sub_co_u32_e32 v3, vcc, v0, v3
	v_subb_co_u32_e64 v7, s[0:1], v7, v8, vcc
	v_subrev_co_u32_e64 v8, s[0:1], s24, v3
	v_subbrev_co_u32_e64 v7, s[0:1], 0, v7, s[0:1]
	v_cmp_le_u32_e64 s[0:1], s25, v7
	v_cndmask_b32_e64 v9, 0, -1, s[0:1]
	v_cmp_le_u32_e64 s[0:1], s24, v8
	v_cndmask_b32_e64 v8, 0, -1, s[0:1]
	v_cmp_eq_u32_e64 s[0:1], s25, v7
	v_cndmask_b32_e64 v7, v9, v8, s[0:1]
	v_add_co_u32_e64 v8, s[0:1], 2, v5
	v_addc_co_u32_e64 v9, s[0:1], 0, v6, s[0:1]
	v_add_co_u32_e64 v10, s[0:1], 1, v5
	v_addc_co_u32_e64 v11, s[0:1], 0, v6, s[0:1]
	v_subb_co_u32_e32 v4, vcc, v1, v4, vcc
	v_cmp_ne_u32_e64 s[0:1], 0, v7
	v_cmp_le_u32_e32 vcc, s25, v4
	v_cndmask_b32_e64 v7, v11, v9, s[0:1]
	v_cndmask_b32_e64 v9, 0, -1, vcc
	v_cmp_le_u32_e32 vcc, s24, v3
	v_cndmask_b32_e64 v3, 0, -1, vcc
	v_cmp_eq_u32_e32 vcc, s25, v4
	v_cndmask_b32_e32 v3, v9, v3, vcc
	v_cmp_ne_u32_e32 vcc, 0, v3
	v_cndmask_b32_e64 v3, v10, v8, s[0:1]
	v_cndmask_b32_e32 v4, v6, v7, vcc
	v_cndmask_b32_e32 v3, v5, v3, vcc
.LBB3_11:
	s_or_saveexec_b64 s[0:1], s[2:3]
	v_cvt_f32_u32_e32 v14, s24
	s_xor_b64 exec, exec, s[0:1]
	s_cbranch_execz .LBB3_13
; %bb.12:
	v_rcp_iflag_f32_e32 v3, v14
	s_sub_i32 s2, 0, s24
	v_mul_f32_e32 v3, 0x4f7ffffe, v3
	v_cvt_u32_f32_e32 v3, v3
	v_mul_lo_u32 v4, s2, v3
	v_mul_hi_u32 v4, v3, v4
	v_add_u32_e32 v3, v3, v4
	v_mul_hi_u32 v3, v0, v3
	v_mul_lo_u32 v4, v3, s24
	v_add_u32_e32 v5, 1, v3
	v_sub_u32_e32 v4, v0, v4
	v_subrev_u32_e32 v6, s24, v4
	v_cmp_le_u32_e32 vcc, s24, v4
	v_cndmask_b32_e32 v4, v4, v6, vcc
	v_cndmask_b32_e32 v3, v3, v5, vcc
	v_add_u32_e32 v5, 1, v3
	v_cmp_le_u32_e32 vcc, s24, v4
	v_cndmask_b32_e32 v3, v3, v5, vcc
	v_mov_b32_e32 v4, 0
.LBB3_13:
	s_or_b64 exec, exec, s[0:1]
	v_cvt_f32_u32_e32 v9, s22
	v_cvt_f32_u32_e32 v10, s23
	v_or_b32_e32 v6, s23, v1
	v_mov_b32_e32 v5, 0
	v_cmp_ne_u64_e32 vcc, 0, v[5:6]
                                        ; implicit-def: $vgpr5_vgpr6
	s_and_saveexec_b64 s[0:1], vcc
	s_xor_b64 s[2:3], exec, s[0:1]
	s_cbranch_execz .LBB3_15
; %bb.14:
	v_madmk_f32 v5, v10, 0x4f800000, v9
	v_rcp_f32_e32 v5, v5
	s_sub_u32 s6, 0, s22
	s_subb_u32 s7, 0, s23
	v_mul_f32_e32 v5, 0x5f7ffffc, v5
	v_mul_f32_e32 v6, 0x2f800000, v5
	v_trunc_f32_e32 v6, v6
	v_madmk_f32 v5, v6, 0xcf800000, v5
	v_cvt_u32_f32_e32 v6, v6
	v_cvt_u32_f32_e32 v5, v5
	v_readfirstlane_b32 s28, v6
	v_readfirstlane_b32 s0, v5
	s_mul_i32 s1, s6, s28
	s_mul_hi_u32 s30, s6, s0
	s_mul_i32 s29, s7, s0
	s_add_i32 s1, s30, s1
	s_add_i32 s1, s1, s29
	s_mul_i32 s31, s6, s0
	s_mul_i32 s30, s0, s1
	s_mul_hi_u32 s33, s0, s31
	s_mul_hi_u32 s29, s0, s1
	s_add_u32 s30, s33, s30
	s_addc_u32 s29, 0, s29
	s_mul_hi_u32 s34, s28, s31
	s_mul_i32 s31, s28, s31
	s_add_u32 s30, s30, s31
	s_mul_hi_u32 s33, s28, s1
	s_addc_u32 s29, s29, s34
	s_addc_u32 s30, s33, 0
	s_mul_i32 s1, s28, s1
	s_add_u32 s1, s29, s1
	s_addc_u32 s29, 0, s30
	s_add_u32 s30, s0, s1
	s_cselect_b64 s[0:1], -1, 0
	s_cmp_lg_u64 s[0:1], 0
	s_addc_u32 s28, s28, s29
	s_mul_i32 s0, s6, s28
	s_mul_hi_u32 s1, s6, s30
	s_add_i32 s0, s1, s0
	s_mul_i32 s7, s7, s30
	s_add_i32 s0, s0, s7
	s_mul_i32 s6, s6, s30
	s_mul_hi_u32 s7, s28, s6
	s_mul_i32 s29, s28, s6
	s_mul_i32 s33, s30, s0
	s_mul_hi_u32 s6, s30, s6
	s_mul_hi_u32 s31, s30, s0
	s_add_u32 s6, s6, s33
	s_addc_u32 s31, 0, s31
	s_add_u32 s6, s6, s29
	s_mul_hi_u32 s1, s28, s0
	s_addc_u32 s6, s31, s7
	s_addc_u32 s1, s1, 0
	s_mul_i32 s0, s28, s0
	s_add_u32 s0, s6, s0
	s_addc_u32 s6, 0, s1
	s_add_u32 s7, s30, s0
	s_cselect_b64 s[0:1], -1, 0
	s_cmp_lg_u64 s[0:1], 0
	s_addc_u32 s6, s28, s6
	v_mad_u64_u32 v[5:6], s[0:1], v0, s6, 0
	v_mul_hi_u32 v7, v0, s7
	v_add_co_u32_e32 v11, vcc, v7, v5
	v_addc_co_u32_e32 v15, vcc, 0, v6, vcc
	v_mad_u64_u32 v[5:6], s[0:1], v1, s7, 0
	v_mad_u64_u32 v[7:8], s[0:1], v1, s6, 0
	v_add_co_u32_e32 v5, vcc, v11, v5
	v_addc_co_u32_e32 v5, vcc, v15, v6, vcc
	v_addc_co_u32_e32 v6, vcc, 0, v8, vcc
	v_add_co_u32_e32 v7, vcc, v5, v7
	v_addc_co_u32_e32 v8, vcc, 0, v6, vcc
	v_mul_lo_u32 v11, s23, v7
	v_mul_lo_u32 v15, s22, v8
	v_mad_u64_u32 v[5:6], s[0:1], s22, v7, 0
	v_add3_u32 v6, v6, v15, v11
	v_sub_u32_e32 v11, v1, v6
	v_mov_b32_e32 v15, s23
	v_sub_co_u32_e32 v5, vcc, v0, v5
	v_subb_co_u32_e64 v11, s[0:1], v11, v15, vcc
	v_subrev_co_u32_e64 v15, s[0:1], s22, v5
	v_subbrev_co_u32_e64 v11, s[0:1], 0, v11, s[0:1]
	v_cmp_le_u32_e64 s[0:1], s23, v11
	v_cndmask_b32_e64 v16, 0, -1, s[0:1]
	v_cmp_le_u32_e64 s[0:1], s22, v15
	v_cndmask_b32_e64 v15, 0, -1, s[0:1]
	v_cmp_eq_u32_e64 s[0:1], s23, v11
	v_cndmask_b32_e64 v11, v16, v15, s[0:1]
	v_add_co_u32_e64 v15, s[0:1], 2, v7
	v_addc_co_u32_e64 v16, s[0:1], 0, v8, s[0:1]
	v_add_co_u32_e64 v17, s[0:1], 1, v7
	v_addc_co_u32_e64 v18, s[0:1], 0, v8, s[0:1]
	v_subb_co_u32_e32 v6, vcc, v1, v6, vcc
	v_cmp_ne_u32_e64 s[0:1], 0, v11
	v_cmp_le_u32_e32 vcc, s23, v6
	v_cndmask_b32_e64 v11, v18, v16, s[0:1]
	v_cndmask_b32_e64 v16, 0, -1, vcc
	v_cmp_le_u32_e32 vcc, s22, v5
	v_cndmask_b32_e64 v5, 0, -1, vcc
	v_cmp_eq_u32_e32 vcc, s23, v6
	v_cndmask_b32_e32 v5, v16, v5, vcc
	v_cmp_ne_u32_e32 vcc, 0, v5
	v_cndmask_b32_e64 v5, v17, v15, s[0:1]
	v_cndmask_b32_e32 v6, v8, v11, vcc
	v_cndmask_b32_e32 v5, v7, v5, vcc
.LBB3_15:
	s_or_saveexec_b64 s[0:1], s[2:3]
	v_cvt_f32_u32_e32 v11, s22
	s_xor_b64 exec, exec, s[0:1]
	s_cbranch_execz .LBB3_17
; %bb.16:
	v_rcp_iflag_f32_e32 v5, v11
	s_sub_i32 s2, 0, s22
	v_mul_f32_e32 v5, 0x4f7ffffe, v5
	v_cvt_u32_f32_e32 v5, v5
	v_mul_lo_u32 v6, s2, v5
	v_mul_hi_u32 v6, v5, v6
	v_add_u32_e32 v5, v5, v6
	v_mul_hi_u32 v5, v0, v5
	v_mul_lo_u32 v6, v5, s22
	v_add_u32_e32 v7, 1, v5
	v_sub_u32_e32 v6, v0, v6
	v_subrev_u32_e32 v8, s22, v6
	v_cmp_le_u32_e32 vcc, s22, v6
	v_cndmask_b32_e32 v6, v6, v8, vcc
	v_cndmask_b32_e32 v5, v5, v7, vcc
	v_add_u32_e32 v7, 1, v5
	v_cmp_le_u32_e32 vcc, s22, v6
	v_cndmask_b32_e32 v5, v5, v7, vcc
	v_mov_b32_e32 v6, 0
.LBB3_17:
	s_or_b64 exec, exec, s[0:1]
	v_or_b32_e32 v8, s25, v6
	v_mov_b32_e32 v7, 0
	v_cmp_ne_u64_e32 vcc, 0, v[7:8]
                                        ; implicit-def: $vgpr7_vgpr8
	s_and_saveexec_b64 s[0:1], vcc
	s_xor_b64 s[2:3], exec, s[0:1]
	s_cbranch_execz .LBB3_19
; %bb.18:
	v_madmk_f32 v7, v13, 0x4f800000, v12
	v_rcp_f32_e32 v7, v7
	s_sub_u32 s6, 0, s24
	s_subb_u32 s7, 0, s25
	v_mul_f32_e32 v7, 0x5f7ffffc, v7
	v_mul_f32_e32 v8, 0x2f800000, v7
	v_trunc_f32_e32 v8, v8
	v_madmk_f32 v7, v8, 0xcf800000, v7
	v_cvt_u32_f32_e32 v8, v8
	v_cvt_u32_f32_e32 v7, v7
	v_readfirstlane_b32 s28, v8
	v_readfirstlane_b32 s0, v7
	s_mul_i32 s1, s6, s28
	s_mul_hi_u32 s30, s6, s0
	s_mul_i32 s29, s7, s0
	s_add_i32 s1, s30, s1
	s_add_i32 s1, s1, s29
	s_mul_i32 s31, s6, s0
	s_mul_i32 s30, s0, s1
	s_mul_hi_u32 s33, s0, s31
	s_mul_hi_u32 s29, s0, s1
	s_add_u32 s30, s33, s30
	s_addc_u32 s29, 0, s29
	s_mul_hi_u32 s34, s28, s31
	s_mul_i32 s31, s28, s31
	s_add_u32 s30, s30, s31
	s_mul_hi_u32 s33, s28, s1
	s_addc_u32 s29, s29, s34
	s_addc_u32 s30, s33, 0
	s_mul_i32 s1, s28, s1
	s_add_u32 s1, s29, s1
	s_addc_u32 s29, 0, s30
	s_add_u32 s30, s0, s1
	s_cselect_b64 s[0:1], -1, 0
	s_cmp_lg_u64 s[0:1], 0
	s_addc_u32 s28, s28, s29
	s_mul_i32 s0, s6, s28
	s_mul_hi_u32 s1, s6, s30
	s_add_i32 s0, s1, s0
	s_mul_i32 s7, s7, s30
	s_add_i32 s0, s0, s7
	s_mul_i32 s6, s6, s30
	s_mul_hi_u32 s7, s28, s6
	s_mul_i32 s29, s28, s6
	s_mul_i32 s33, s30, s0
	s_mul_hi_u32 s6, s30, s6
	s_mul_hi_u32 s31, s30, s0
	s_add_u32 s6, s6, s33
	s_addc_u32 s31, 0, s31
	s_add_u32 s6, s6, s29
	s_mul_hi_u32 s1, s28, s0
	s_addc_u32 s6, s31, s7
	s_addc_u32 s1, s1, 0
	s_mul_i32 s0, s28, s0
	s_add_u32 s0, s6, s0
	s_addc_u32 s6, 0, s1
	s_add_u32 s7, s30, s0
	s_cselect_b64 s[0:1], -1, 0
	s_cmp_lg_u64 s[0:1], 0
	s_addc_u32 s6, s28, s6
	v_mad_u64_u32 v[7:8], s[0:1], v5, s6, 0
	v_mul_hi_u32 v12, v5, s7
	v_add_co_u32_e32 v14, vcc, v12, v7
	v_addc_co_u32_e32 v15, vcc, 0, v8, vcc
	v_mad_u64_u32 v[7:8], s[0:1], v6, s7, 0
	v_mad_u64_u32 v[12:13], s[0:1], v6, s6, 0
	v_add_co_u32_e32 v7, vcc, v14, v7
	v_addc_co_u32_e32 v7, vcc, v15, v8, vcc
	v_addc_co_u32_e32 v8, vcc, 0, v13, vcc
	v_add_co_u32_e32 v12, vcc, v7, v12
	v_addc_co_u32_e32 v13, vcc, 0, v8, vcc
	v_mul_lo_u32 v14, s25, v12
	v_mul_lo_u32 v15, s24, v13
	v_mad_u64_u32 v[7:8], s[0:1], s24, v12, 0
	v_add3_u32 v8, v8, v15, v14
	v_sub_u32_e32 v14, v6, v8
	v_mov_b32_e32 v15, s25
	v_sub_co_u32_e32 v5, vcc, v5, v7
	v_subb_co_u32_e64 v7, s[0:1], v14, v15, vcc
	v_subrev_co_u32_e64 v14, s[0:1], s24, v5
	v_subbrev_co_u32_e64 v7, s[0:1], 0, v7, s[0:1]
	v_cmp_le_u32_e64 s[0:1], s25, v7
	v_cndmask_b32_e64 v15, 0, -1, s[0:1]
	v_cmp_le_u32_e64 s[0:1], s24, v14
	v_cndmask_b32_e64 v14, 0, -1, s[0:1]
	v_cmp_eq_u32_e64 s[0:1], s25, v7
	v_cndmask_b32_e64 v7, v15, v14, s[0:1]
	v_add_co_u32_e64 v14, s[0:1], 2, v12
	v_subb_co_u32_e32 v6, vcc, v6, v8, vcc
	v_addc_co_u32_e64 v15, s[0:1], 0, v13, s[0:1]
	v_cmp_le_u32_e32 vcc, s25, v6
	v_add_co_u32_e64 v16, s[0:1], 1, v12
	v_cndmask_b32_e64 v8, 0, -1, vcc
	v_cmp_le_u32_e32 vcc, s24, v5
	v_addc_co_u32_e64 v17, s[0:1], 0, v13, s[0:1]
	v_cndmask_b32_e64 v5, 0, -1, vcc
	v_cmp_eq_u32_e32 vcc, s25, v6
	v_cmp_ne_u32_e64 s[0:1], 0, v7
	v_cndmask_b32_e32 v5, v8, v5, vcc
	v_cndmask_b32_e64 v7, v17, v15, s[0:1]
	v_cmp_ne_u32_e32 vcc, 0, v5
	v_cndmask_b32_e64 v5, v16, v14, s[0:1]
	v_cndmask_b32_e32 v8, v13, v7, vcc
	v_cndmask_b32_e32 v7, v12, v5, vcc
                                        ; implicit-def: $vgpr14
                                        ; implicit-def: $vgpr5_vgpr6
.LBB3_19:
	s_andn2_saveexec_b64 s[0:1], s[2:3]
	s_cbranch_execz .LBB3_21
; %bb.20:
	v_rcp_iflag_f32_e32 v6, v14
	s_sub_i32 s2, 0, s24
	v_mul_f32_e32 v6, 0x4f7ffffe, v6
	v_cvt_u32_f32_e32 v6, v6
	v_mul_lo_u32 v7, s2, v6
	v_mul_hi_u32 v7, v6, v7
	v_add_u32_e32 v6, v6, v7
	v_mul_hi_u32 v6, v5, v6
	v_mul_lo_u32 v7, v6, s24
	v_add_u32_e32 v8, 1, v6
	v_sub_u32_e32 v5, v5, v7
	v_subrev_u32_e32 v7, s24, v5
	v_cmp_le_u32_e32 vcc, s24, v5
	v_cndmask_b32_e32 v5, v5, v7, vcc
	v_cndmask_b32_e32 v6, v6, v8, vcc
	v_add_u32_e32 v7, 1, v6
	v_cmp_le_u32_e32 vcc, s24, v5
	v_cndmask_b32_e32 v7, v6, v7, vcc
	v_mov_b32_e32 v8, 0
.LBB3_21:
	s_or_b64 exec, exec, s[0:1]
	v_or_b32_e32 v6, s21, v8
	v_mov_b32_e32 v5, 0
	v_cmp_ne_u64_e32 vcc, 0, v[5:6]
                                        ; implicit-def: $vgpr5_vgpr6
	s_and_saveexec_b64 s[0:1], vcc
	s_xor_b64 s[2:3], exec, s[0:1]
	s_cbranch_execz .LBB3_23
; %bb.22:
	v_cvt_f32_u32_e32 v5, s20
	v_cvt_f32_u32_e32 v6, s21
	s_sub_u32 s6, 0, s20
	s_subb_u32 s7, 0, s21
	v_madmk_f32 v5, v6, 0x4f800000, v5
	v_rcp_f32_e32 v5, v5
	v_mul_f32_e32 v5, 0x5f7ffffc, v5
	v_mul_f32_e32 v6, 0x2f800000, v5
	v_trunc_f32_e32 v6, v6
	v_madmk_f32 v5, v6, 0xcf800000, v5
	v_cvt_u32_f32_e32 v6, v6
	v_cvt_u32_f32_e32 v5, v5
	v_readfirstlane_b32 s28, v6
	v_readfirstlane_b32 s0, v5
	s_mul_i32 s1, s6, s28
	s_mul_hi_u32 s30, s6, s0
	s_mul_i32 s29, s7, s0
	s_add_i32 s1, s30, s1
	s_mul_i32 s31, s6, s0
	s_add_i32 s1, s1, s29
	s_mul_i32 s30, s0, s1
	s_mul_hi_u32 s33, s0, s31
	s_mul_hi_u32 s29, s0, s1
	s_add_u32 s30, s33, s30
	s_addc_u32 s29, 0, s29
	s_mul_hi_u32 s34, s28, s31
	s_mul_i32 s31, s28, s31
	s_add_u32 s30, s30, s31
	s_mul_hi_u32 s33, s28, s1
	s_addc_u32 s29, s29, s34
	s_addc_u32 s30, s33, 0
	s_mul_i32 s1, s28, s1
	s_add_u32 s1, s29, s1
	s_addc_u32 s29, 0, s30
	s_add_u32 s30, s0, s1
	s_cselect_b64 s[0:1], -1, 0
	s_cmp_lg_u64 s[0:1], 0
	s_addc_u32 s28, s28, s29
	s_mul_i32 s0, s6, s28
	s_mul_hi_u32 s1, s6, s30
	s_add_i32 s0, s1, s0
	s_mul_i32 s7, s7, s30
	s_add_i32 s0, s0, s7
	s_mul_i32 s6, s6, s30
	s_mul_hi_u32 s7, s28, s6
	s_mul_i32 s29, s28, s6
	s_mul_i32 s33, s30, s0
	s_mul_hi_u32 s6, s30, s6
	s_mul_hi_u32 s31, s30, s0
	s_add_u32 s6, s6, s33
	s_addc_u32 s31, 0, s31
	s_add_u32 s6, s6, s29
	s_mul_hi_u32 s1, s28, s0
	s_addc_u32 s6, s31, s7
	s_addc_u32 s1, s1, 0
	s_mul_i32 s0, s28, s0
	s_add_u32 s0, s6, s0
	s_addc_u32 s6, 0, s1
	s_add_u32 s7, s30, s0
	s_cselect_b64 s[0:1], -1, 0
	s_cmp_lg_u64 s[0:1], 0
	s_addc_u32 s6, s28, s6
	v_mad_u64_u32 v[5:6], s[0:1], v7, s6, 0
	v_mul_hi_u32 v12, v7, s7
	v_add_co_u32_e32 v14, vcc, v12, v5
	v_addc_co_u32_e32 v15, vcc, 0, v6, vcc
	v_mad_u64_u32 v[5:6], s[0:1], v8, s7, 0
	v_mad_u64_u32 v[12:13], s[0:1], v8, s6, 0
	v_add_co_u32_e32 v5, vcc, v14, v5
	v_addc_co_u32_e32 v5, vcc, v15, v6, vcc
	v_addc_co_u32_e32 v6, vcc, 0, v13, vcc
	v_add_co_u32_e32 v5, vcc, v5, v12
	v_addc_co_u32_e32 v6, vcc, 0, v6, vcc
	v_mul_lo_u32 v12, s21, v5
	v_mul_lo_u32 v13, s20, v6
	v_mad_u64_u32 v[5:6], s[0:1], s20, v5, 0
	v_add3_u32 v6, v6, v13, v12
	v_sub_u32_e32 v12, v8, v6
	v_mov_b32_e32 v13, s21
	v_sub_co_u32_e32 v5, vcc, v7, v5
	v_subb_co_u32_e64 v7, s[0:1], v12, v13, vcc
	v_subrev_co_u32_e64 v12, s[0:1], s20, v5
	v_subbrev_co_u32_e64 v7, s[0:1], 0, v7, s[0:1]
	v_cmp_le_u32_e64 s[0:1], s21, v7
	v_subb_co_u32_e32 v6, vcc, v8, v6, vcc
	v_cndmask_b32_e64 v13, 0, -1, s[0:1]
	v_cmp_le_u32_e64 s[0:1], s20, v12
	v_cmp_le_u32_e32 vcc, s21, v6
	v_cndmask_b32_e64 v14, 0, -1, s[0:1]
	v_cmp_eq_u32_e64 s[0:1], s21, v7
	v_cndmask_b32_e64 v8, 0, -1, vcc
	v_cmp_le_u32_e32 vcc, s20, v5
	v_cndmask_b32_e64 v7, v13, v14, s[0:1]
	v_cndmask_b32_e64 v14, 0, -1, vcc
	v_cmp_eq_u32_e32 vcc, s21, v6
	v_subrev_co_u32_e64 v13, s[0:1], s20, v12
	v_cndmask_b32_e32 v6, v8, v14, vcc
	v_cmp_ne_u32_e32 vcc, 0, v7
	v_cndmask_b32_e32 v7, v12, v13, vcc
	v_cmp_ne_u32_e32 vcc, 0, v6
	v_cndmask_b32_e32 v5, v5, v7, vcc
                                        ; implicit-def: $vgpr7_vgpr8
.LBB3_23:
	s_andn2_saveexec_b64 s[0:1], s[2:3]
	s_cbranch_execz .LBB3_25
; %bb.24:
	v_cvt_f32_u32_e32 v5, s20
	s_sub_i32 s2, 0, s20
	v_rcp_iflag_f32_e32 v5, v5
	v_mul_f32_e32 v5, 0x4f7ffffe, v5
	v_cvt_u32_f32_e32 v5, v5
	v_mul_lo_u32 v6, s2, v5
	v_mul_hi_u32 v6, v5, v6
	v_add_u32_e32 v5, v5, v6
	v_mul_hi_u32 v5, v7, v5
	v_mul_lo_u32 v5, v5, s20
	v_sub_u32_e32 v5, v7, v5
	v_subrev_u32_e32 v6, s20, v5
	v_cmp_le_u32_e32 vcc, s20, v5
	v_cndmask_b32_e32 v5, v5, v6, vcc
	v_subrev_u32_e32 v6, s20, v5
	v_cmp_le_u32_e32 vcc, s20, v5
	v_cndmask_b32_e32 v5, v5, v6, vcc
.LBB3_25:
	s_or_b64 exec, exec, s[0:1]
	v_or_b32_e32 v7, s23, v4
	v_mov_b32_e32 v6, 0
	v_cmp_ne_u64_e32 vcc, 0, v[6:7]
                                        ; implicit-def: $vgpr6_vgpr7
	s_and_saveexec_b64 s[0:1], vcc
	s_xor_b64 s[2:3], exec, s[0:1]
	s_cbranch_execz .LBB3_27
; %bb.26:
	v_madmk_f32 v6, v10, 0x4f800000, v9
	v_rcp_f32_e32 v6, v6
	s_sub_u32 s6, 0, s22
	s_subb_u32 s7, 0, s23
	v_mul_f32_e32 v6, 0x5f7ffffc, v6
	v_mul_f32_e32 v7, 0x2f800000, v6
	v_trunc_f32_e32 v7, v7
	v_madmk_f32 v6, v7, 0xcf800000, v6
	v_cvt_u32_f32_e32 v7, v7
	v_cvt_u32_f32_e32 v6, v6
	v_readfirstlane_b32 s28, v7
	v_readfirstlane_b32 s0, v6
	s_mul_i32 s1, s6, s28
	s_mul_hi_u32 s30, s6, s0
	s_mul_i32 s29, s7, s0
	s_add_i32 s1, s30, s1
	s_add_i32 s1, s1, s29
	s_mul_i32 s31, s6, s0
	s_mul_i32 s30, s0, s1
	s_mul_hi_u32 s33, s0, s31
	s_mul_hi_u32 s29, s0, s1
	s_add_u32 s30, s33, s30
	s_addc_u32 s29, 0, s29
	s_mul_hi_u32 s34, s28, s31
	s_mul_i32 s31, s28, s31
	s_add_u32 s30, s30, s31
	s_mul_hi_u32 s33, s28, s1
	s_addc_u32 s29, s29, s34
	s_addc_u32 s30, s33, 0
	s_mul_i32 s1, s28, s1
	s_add_u32 s1, s29, s1
	s_addc_u32 s29, 0, s30
	s_add_u32 s30, s0, s1
	s_cselect_b64 s[0:1], -1, 0
	s_cmp_lg_u64 s[0:1], 0
	s_addc_u32 s28, s28, s29
	s_mul_i32 s0, s6, s28
	s_mul_hi_u32 s1, s6, s30
	s_add_i32 s0, s1, s0
	s_mul_i32 s7, s7, s30
	s_add_i32 s0, s0, s7
	s_mul_i32 s6, s6, s30
	s_mul_hi_u32 s7, s28, s6
	s_mul_i32 s29, s28, s6
	s_mul_i32 s33, s30, s0
	s_mul_hi_u32 s6, s30, s6
	s_mul_hi_u32 s31, s30, s0
	s_add_u32 s6, s6, s33
	s_addc_u32 s31, 0, s31
	s_add_u32 s6, s6, s29
	s_mul_hi_u32 s1, s28, s0
	s_addc_u32 s6, s31, s7
	s_addc_u32 s1, s1, 0
	s_mul_i32 s0, s28, s0
	s_add_u32 s0, s6, s0
	s_addc_u32 s6, 0, s1
	s_add_u32 s7, s30, s0
	s_cselect_b64 s[0:1], -1, 0
	s_cmp_lg_u64 s[0:1], 0
	s_addc_u32 s6, s28, s6
	v_mad_u64_u32 v[6:7], s[0:1], v3, s6, 0
	v_mul_hi_u32 v8, v3, s7
	v_add_co_u32_e32 v10, vcc, v8, v6
	v_addc_co_u32_e32 v11, vcc, 0, v7, vcc
	v_mad_u64_u32 v[6:7], s[0:1], v4, s7, 0
	v_mad_u64_u32 v[8:9], s[0:1], v4, s6, 0
	v_add_co_u32_e32 v6, vcc, v10, v6
	v_addc_co_u32_e32 v6, vcc, v11, v7, vcc
	v_addc_co_u32_e32 v7, vcc, 0, v9, vcc
	v_add_co_u32_e32 v6, vcc, v6, v8
	v_addc_co_u32_e32 v7, vcc, 0, v7, vcc
	v_mul_lo_u32 v8, s23, v6
	v_mul_lo_u32 v9, s22, v7
	v_mad_u64_u32 v[6:7], s[0:1], s22, v6, 0
	v_add3_u32 v7, v7, v9, v8
	v_sub_u32_e32 v8, v4, v7
	v_mov_b32_e32 v9, s23
	v_sub_co_u32_e32 v6, vcc, v3, v6
	v_subb_co_u32_e64 v8, s[0:1], v8, v9, vcc
	v_subrev_co_u32_e64 v9, s[0:1], s22, v6
	v_subbrev_co_u32_e64 v8, s[0:1], 0, v8, s[0:1]
	v_cmp_le_u32_e64 s[0:1], s23, v8
	v_subb_co_u32_e32 v4, vcc, v4, v7, vcc
	v_cndmask_b32_e64 v10, 0, -1, s[0:1]
	v_cmp_le_u32_e64 s[0:1], s22, v9
	v_cmp_le_u32_e32 vcc, s23, v4
	v_cndmask_b32_e64 v11, 0, -1, s[0:1]
	v_cmp_eq_u32_e64 s[0:1], s23, v8
	v_cndmask_b32_e64 v7, 0, -1, vcc
	v_cmp_le_u32_e32 vcc, s22, v6
	v_cndmask_b32_e64 v8, v10, v11, s[0:1]
	v_cndmask_b32_e64 v11, 0, -1, vcc
	v_cmp_eq_u32_e32 vcc, s23, v4
	v_subrev_co_u32_e64 v10, s[0:1], s22, v9
	v_cndmask_b32_e32 v4, v7, v11, vcc
	v_cmp_ne_u32_e32 vcc, 0, v8
	v_cndmask_b32_e32 v7, v9, v10, vcc
	v_cmp_ne_u32_e32 vcc, 0, v4
	v_cndmask_b32_e32 v6, v6, v7, vcc
                                        ; implicit-def: $vgpr11
.LBB3_27:
	s_andn2_saveexec_b64 s[0:1], s[2:3]
	s_cbranch_execz .LBB3_29
; %bb.28:
	v_rcp_iflag_f32_e32 v4, v11
	s_sub_i32 s2, 0, s22
	v_mul_f32_e32 v4, 0x4f7ffffe, v4
	v_cvt_u32_f32_e32 v4, v4
	v_mul_lo_u32 v6, s2, v4
	v_mul_hi_u32 v6, v4, v6
	v_add_u32_e32 v4, v4, v6
	v_mul_hi_u32 v4, v3, v4
	v_mul_lo_u32 v4, v4, s22
	v_sub_u32_e32 v4, v3, v4
	v_subrev_u32_e32 v6, s22, v4
	v_cmp_le_u32_e32 vcc, s22, v4
	v_cndmask_b32_e32 v4, v4, v6, vcc
	v_subrev_u32_e32 v6, s22, v4
	v_cmp_le_u32_e32 vcc, s22, v4
	v_cndmask_b32_e32 v6, v4, v6, vcc
.LBB3_29:
	s_or_b64 exec, exec, s[0:1]
	s_load_dwordx4 s[0:3], s[4:5], 0x50
	v_mul_lo_u32 v3, v3, s24
	v_cvt_f32_i32_e32 v4, v5
	v_cvt_f32_i32_e32 v6, v6
	s_waitcnt lgkmcnt(0)
	s_add_i32 s3, s14, -1
	v_sub_u32_e32 v3, v0, v3
	v_mul_f32_e32 v4, s0, v4
	v_cvt_f32_i32_e32 v3, v3
	v_floor_f32_e32 v4, v4
	v_cvt_i32_f32_e32 v4, v4
	s_mul_i32 s4, s18, s17
	v_mul_f32_e32 v3, s2, v3
	s_mul_hi_u32 s0, s18, s16
	v_floor_f32_e32 v3, v3
	s_mul_i32 s5, s19, s16
	s_add_i32 s0, s0, s4
	v_min_i32_e32 v7, s3, v4
	s_mul_i32 s3, s18, s16
	v_cvt_i32_f32_e32 v3, v3
	s_add_i32 s0, s0, s5
	s_mul_i32 s4, s3, s15
	s_mul_hi_u32 s5, s3, s14
	s_add_i32 s4, s5, s4
	s_mul_i32 s0, s0, s14
	v_mul_f32_e32 v6, s1, v6
	s_add_i32 s4, s4, s0
	s_add_i32 s0, s18, -1
	v_floor_f32_e32 v6, v6
	v_min_i32_e32 v3, s0, v3
	v_cvt_i32_f32_e32 v6, v6
	s_mul_i32 s2, s3, s14
	v_ashrrev_i32_e32 v4, 31, v3
	v_ashrrev_i32_e32 v5, 31, v2
	v_mul_lo_u32 v9, v2, s4
	v_mad_u64_u32 v[2:3], s[0:1], v2, s2, v[3:4]
	s_add_i32 s0, s16, -1
	v_min_i32_e32 v4, s0, v6
	v_mul_lo_u32 v10, v5, s2
	v_ashrrev_i32_e32 v5, 31, v4
	v_mad_u64_u32 v[4:5], s[0:1], s16, v7, v[4:5]
	v_add3_u32 v3, v10, v3, v9
	v_ashrrev_i32_e32 v8, 31, v7
	v_mad_u64_u32 v[2:3], s[0:1], v4, s18, v[2:3]
	s_mul_i32 s0, s2, s13
	s_mul_hi_u32 s1, s2, s12
	s_mul_i32 s4, s4, s12
	s_add_i32 s0, s1, s0
	v_mul_lo_u32 v6, s16, v8
	v_mul_lo_u32 v7, s17, v7
	s_add_i32 s7, s0, s4
	s_mul_i32 s0, s24, s23
	s_mul_hi_u32 s1, s24, s22
	s_add_i32 s0, s1, s0
	s_mul_i32 s1, s25, s22
	s_add_i32 s0, s0, s1
	s_mul_i32 s1, s24, s22
	s_mul_i32 s6, s2, s12
	;; [unrolled: 1-line block ×3, first 2 shown]
	s_mul_hi_u32 s3, s1, s20
	v_add3_u32 v5, v7, v5, v6
	s_add_i32 s2, s3, s2
	s_mul_i32 s0, s0, s20
	v_mul_lo_u32 v5, v5, s18
	v_mul_lo_u32 v4, v4, s19
	s_add_i32 s0, s2, s0
	s_mul_i32 s2, s1, s20
	s_mul_i32 s1, s2, s13
	s_mul_hi_u32 s3, s2, s12
	v_lshlrev_b64 v[0:1], 1, v[0:1]
	s_mul_i32 s0, s0, s12
	s_add_i32 s1, s3, s1
	s_add_i32 s1, s1, s0
	s_mul_i32 s0, s2, s12
	v_add3_u32 v3, v5, v3, v4
	v_mov_b32_e32 v4, s27
	v_add_co_u32_e32 v0, vcc, s26, v0
	s_lshl_b64 s[2:3], s[0:1], 1
	v_addc_co_u32_e32 v1, vcc, v4, v1, vcc
	s_mov_b64 s[4:5], 0
	v_mov_b32_e32 v4, s9
	v_mov_b32_e32 v5, s7
	v_mov_b32_e32 v6, s3
.LBB3_30:                               ; =>This Inner Loop Header: Depth=1
	v_lshlrev_b64 v[7:8], 1, v[2:3]
	s_add_u32 s4, s4, 1
	v_add_co_u32_e32 v7, vcc, s8, v7
	v_addc_co_u32_e32 v8, vcc, v4, v8, vcc
	global_load_ushort v9, v[7:8], off
	s_addc_u32 s5, s5, 0
	v_add_co_u32_e32 v2, vcc, s6, v2
	v_mov_b32_e32 v8, s5
	v_addc_co_u32_e32 v3, vcc, v3, v5, vcc
	v_mov_b32_e32 v7, s4
	v_cmp_gt_u64_e32 vcc, s[10:11], v[7:8]
	s_and_b64 vcc, exec, vcc
	s_waitcnt vmcnt(0)
	global_store_short v[0:1], v9, off
	v_add_co_u32_e64 v0, s[0:1], s2, v0
	v_addc_co_u32_e64 v1, s[0:1], v1, v6, s[0:1]
	s_cbranch_vccnz .LBB3_30
.LBB3_31:
	s_endpgm
	.section	.rodata,"a",@progbits
	.p2align	6, 0x0
	.amdhsa_kernel _ZN2at6native12_GLOBAL__N_128upsample_nearest3d_out_frameIN3c108BFloat16EXadL_ZNS0_37nearest_neighbor_compute_source_indexEfiiEEEEvPKT_mmmmmmmmPS5_fff
		.amdhsa_group_segment_fixed_size 0
		.amdhsa_private_segment_fixed_size 0
		.amdhsa_kernarg_size 352
		.amdhsa_user_sgpr_count 6
		.amdhsa_user_sgpr_private_segment_buffer 1
		.amdhsa_user_sgpr_dispatch_ptr 0
		.amdhsa_user_sgpr_queue_ptr 0
		.amdhsa_user_sgpr_kernarg_segment_ptr 1
		.amdhsa_user_sgpr_dispatch_id 0
		.amdhsa_user_sgpr_flat_scratch_init 0
		.amdhsa_user_sgpr_private_segment_size 0
		.amdhsa_uses_dynamic_stack 0
		.amdhsa_system_sgpr_private_segment_wavefront_offset 0
		.amdhsa_system_sgpr_workgroup_id_x 1
		.amdhsa_system_sgpr_workgroup_id_y 0
		.amdhsa_system_sgpr_workgroup_id_z 0
		.amdhsa_system_sgpr_workgroup_info 0
		.amdhsa_system_vgpr_workitem_id 0
		.amdhsa_next_free_vgpr 19
		.amdhsa_next_free_sgpr 39
		.amdhsa_reserve_vcc 1
		.amdhsa_reserve_flat_scratch 0
		.amdhsa_float_round_mode_32 0
		.amdhsa_float_round_mode_16_64 0
		.amdhsa_float_denorm_mode_32 3
		.amdhsa_float_denorm_mode_16_64 3
		.amdhsa_dx10_clamp 1
		.amdhsa_ieee_mode 1
		.amdhsa_fp16_overflow 0
		.amdhsa_exception_fp_ieee_invalid_op 0
		.amdhsa_exception_fp_denorm_src 0
		.amdhsa_exception_fp_ieee_div_zero 0
		.amdhsa_exception_fp_ieee_overflow 0
		.amdhsa_exception_fp_ieee_underflow 0
		.amdhsa_exception_fp_ieee_inexact 0
		.amdhsa_exception_int_div_zero 0
	.end_amdhsa_kernel
	.section	.text._ZN2at6native12_GLOBAL__N_128upsample_nearest3d_out_frameIN3c108BFloat16EXadL_ZNS0_37nearest_neighbor_compute_source_indexEfiiEEEEvPKT_mmmmmmmmPS5_fff,"axG",@progbits,_ZN2at6native12_GLOBAL__N_128upsample_nearest3d_out_frameIN3c108BFloat16EXadL_ZNS0_37nearest_neighbor_compute_source_indexEfiiEEEEvPKT_mmmmmmmmPS5_fff,comdat
.Lfunc_end3:
	.size	_ZN2at6native12_GLOBAL__N_128upsample_nearest3d_out_frameIN3c108BFloat16EXadL_ZNS0_37nearest_neighbor_compute_source_indexEfiiEEEEvPKT_mmmmmmmmPS5_fff, .Lfunc_end3-_ZN2at6native12_GLOBAL__N_128upsample_nearest3d_out_frameIN3c108BFloat16EXadL_ZNS0_37nearest_neighbor_compute_source_indexEfiiEEEEvPKT_mmmmmmmmPS5_fff
                                        ; -- End function
	.set _ZN2at6native12_GLOBAL__N_128upsample_nearest3d_out_frameIN3c108BFloat16EXadL_ZNS0_37nearest_neighbor_compute_source_indexEfiiEEEEvPKT_mmmmmmmmPS5_fff.num_vgpr, 19
	.set _ZN2at6native12_GLOBAL__N_128upsample_nearest3d_out_frameIN3c108BFloat16EXadL_ZNS0_37nearest_neighbor_compute_source_indexEfiiEEEEvPKT_mmmmmmmmPS5_fff.num_agpr, 0
	.set _ZN2at6native12_GLOBAL__N_128upsample_nearest3d_out_frameIN3c108BFloat16EXadL_ZNS0_37nearest_neighbor_compute_source_indexEfiiEEEEvPKT_mmmmmmmmPS5_fff.numbered_sgpr, 39
	.set _ZN2at6native12_GLOBAL__N_128upsample_nearest3d_out_frameIN3c108BFloat16EXadL_ZNS0_37nearest_neighbor_compute_source_indexEfiiEEEEvPKT_mmmmmmmmPS5_fff.num_named_barrier, 0
	.set _ZN2at6native12_GLOBAL__N_128upsample_nearest3d_out_frameIN3c108BFloat16EXadL_ZNS0_37nearest_neighbor_compute_source_indexEfiiEEEEvPKT_mmmmmmmmPS5_fff.private_seg_size, 0
	.set _ZN2at6native12_GLOBAL__N_128upsample_nearest3d_out_frameIN3c108BFloat16EXadL_ZNS0_37nearest_neighbor_compute_source_indexEfiiEEEEvPKT_mmmmmmmmPS5_fff.uses_vcc, 1
	.set _ZN2at6native12_GLOBAL__N_128upsample_nearest3d_out_frameIN3c108BFloat16EXadL_ZNS0_37nearest_neighbor_compute_source_indexEfiiEEEEvPKT_mmmmmmmmPS5_fff.uses_flat_scratch, 0
	.set _ZN2at6native12_GLOBAL__N_128upsample_nearest3d_out_frameIN3c108BFloat16EXadL_ZNS0_37nearest_neighbor_compute_source_indexEfiiEEEEvPKT_mmmmmmmmPS5_fff.has_dyn_sized_stack, 0
	.set _ZN2at6native12_GLOBAL__N_128upsample_nearest3d_out_frameIN3c108BFloat16EXadL_ZNS0_37nearest_neighbor_compute_source_indexEfiiEEEEvPKT_mmmmmmmmPS5_fff.has_recursion, 0
	.set _ZN2at6native12_GLOBAL__N_128upsample_nearest3d_out_frameIN3c108BFloat16EXadL_ZNS0_37nearest_neighbor_compute_source_indexEfiiEEEEvPKT_mmmmmmmmPS5_fff.has_indirect_call, 0
	.section	.AMDGPU.csdata,"",@progbits
; Kernel info:
; codeLenInByte = 5348
; TotalNumSgprs: 43
; NumVgprs: 19
; ScratchSize: 0
; MemoryBound: 0
; FloatMode: 240
; IeeeMode: 1
; LDSByteSize: 0 bytes/workgroup (compile time only)
; SGPRBlocks: 5
; VGPRBlocks: 4
; NumSGPRsForWavesPerEU: 43
; NumVGPRsForWavesPerEU: 19
; Occupancy: 10
; WaveLimiterHint : 0
; COMPUTE_PGM_RSRC2:SCRATCH_EN: 0
; COMPUTE_PGM_RSRC2:USER_SGPR: 6
; COMPUTE_PGM_RSRC2:TRAP_HANDLER: 0
; COMPUTE_PGM_RSRC2:TGID_X_EN: 1
; COMPUTE_PGM_RSRC2:TGID_Y_EN: 0
; COMPUTE_PGM_RSRC2:TGID_Z_EN: 0
; COMPUTE_PGM_RSRC2:TIDIG_COMP_CNT: 0
	.section	.text._ZN2at6native12_GLOBAL__N_128upsample_nearest3d_out_frameIhXadL_ZNS0_37nearest_neighbor_compute_source_indexEfiiEEEEvPKT_mmmmmmmmPS3_fff,"axG",@progbits,_ZN2at6native12_GLOBAL__N_128upsample_nearest3d_out_frameIhXadL_ZNS0_37nearest_neighbor_compute_source_indexEfiiEEEEvPKT_mmmmmmmmPS3_fff,comdat
	.globl	_ZN2at6native12_GLOBAL__N_128upsample_nearest3d_out_frameIhXadL_ZNS0_37nearest_neighbor_compute_source_indexEfiiEEEEvPKT_mmmmmmmmPS3_fff ; -- Begin function _ZN2at6native12_GLOBAL__N_128upsample_nearest3d_out_frameIhXadL_ZNS0_37nearest_neighbor_compute_source_indexEfiiEEEEvPKT_mmmmmmmmPS3_fff
	.p2align	8
	.type	_ZN2at6native12_GLOBAL__N_128upsample_nearest3d_out_frameIhXadL_ZNS0_37nearest_neighbor_compute_source_indexEfiiEEEEvPKT_mmmmmmmmPS3_fff,@function
_ZN2at6native12_GLOBAL__N_128upsample_nearest3d_out_frameIhXadL_ZNS0_37nearest_neighbor_compute_source_indexEfiiEEEEvPKT_mmmmmmmmPS3_fff: ; @_ZN2at6native12_GLOBAL__N_128upsample_nearest3d_out_frameIhXadL_ZNS0_37nearest_neighbor_compute_source_indexEfiiEEEEvPKT_mmmmmmmmPS3_fff
; %bb.0:
	s_load_dword s0, s[4:5], 0x6c
	s_load_dwordx4 s[24:27], s[4:5], 0x40
	s_load_dwordx16 s[8:23], s[4:5], 0x0
	v_mov_b32_e32 v2, 0
	v_mov_b32_e32 v1, v2
	s_waitcnt lgkmcnt(0)
	s_and_b32 s0, s0, 0xffff
	v_mov_b32_e32 v3, s6
	v_mad_u64_u32 v[0:1], s[0:1], s0, v3, v[0:1]
	s_mul_i32 s0, s22, s21
	s_mul_hi_u32 s1, s22, s20
	s_add_i32 s1, s1, s0
	s_mul_i32 s0, s23, s20
	s_add_i32 s1, s1, s0
	s_mul_i32 s0, s22, s20
	s_mul_i32 s2, s0, s13
	s_mul_hi_u32 s3, s0, s12
	s_add_i32 s2, s3, s2
	s_mul_i32 s3, s1, s12
	s_add_i32 s2, s2, s3
	s_mul_i32 s3, s0, s12
	s_mul_i32 s6, s3, s25
	s_mul_hi_u32 s7, s3, s24
	s_mul_i32 s2, s2, s24
	s_add_i32 s6, s7, s6
	s_add_i32 s7, s6, s2
	s_mul_i32 s6, s3, s24
	v_cmp_gt_u64_e32 vcc, s[6:7], v[0:1]
	s_cmp_lg_u64 s[10:11], 0
	s_cselect_b64 s[2:3], -1, 0
	s_and_b64 s[2:3], vcc, s[2:3]
	s_and_saveexec_b64 s[28:29], s[2:3]
	s_cbranch_execz .LBB4_31
; %bb.1:
	s_mul_i32 s2, s0, s25
	s_mul_hi_u32 s3, s0, s24
	s_add_i32 s2, s3, s2
	s_mul_i32 s1, s1, s24
	s_add_i32 s1, s2, s1
	v_or_b32_e32 v3, s1, v1
	v_cmp_ne_u64_e32 vcc, 0, v[2:3]
	s_mul_i32 s33, s0, s24
                                        ; implicit-def: $vgpr4_vgpr5
	s_and_saveexec_b64 s[2:3], vcc
	s_xor_b64 s[2:3], exec, s[2:3]
	s_cbranch_execz .LBB4_3
; %bb.2:
	s_ashr_i32 s28, s1, 31
	s_add_u32 s0, s33, s28
	s_mov_b32 s29, s28
	s_addc_u32 s1, s1, s28
	s_xor_b64 s[30:31], s[0:1], s[28:29]
	v_cvt_f32_u32_e32 v2, s30
	v_cvt_f32_u32_e32 v3, s31
	s_sub_u32 s29, 0, s30
	s_subb_u32 s34, 0, s31
	v_ashrrev_i32_e32 v6, 31, v1
	v_madmk_f32 v2, v3, 0x4f800000, v2
	v_rcp_f32_e32 v2, v2
	v_mul_f32_e32 v2, 0x5f7ffffc, v2
	v_mul_f32_e32 v3, 0x2f800000, v2
	v_trunc_f32_e32 v3, v3
	v_madmk_f32 v2, v3, 0xcf800000, v2
	v_cvt_u32_f32_e32 v3, v3
	v_cvt_u32_f32_e32 v2, v2
	v_readfirstlane_b32 s35, v3
	v_readfirstlane_b32 s0, v2
	s_mul_i32 s1, s29, s35
	s_mul_hi_u32 s37, s29, s0
	s_mul_i32 s36, s34, s0
	s_add_i32 s1, s37, s1
	s_add_i32 s1, s1, s36
	s_mul_i32 s38, s29, s0
	s_mul_i32 s37, s0, s1
	s_mul_hi_u32 s39, s0, s38
	s_mul_hi_u32 s36, s0, s1
	s_add_u32 s37, s39, s37
	s_addc_u32 s36, 0, s36
	s_mul_hi_u32 s40, s35, s38
	s_mul_i32 s38, s35, s38
	s_add_u32 s37, s37, s38
	s_mul_hi_u32 s39, s35, s1
	s_addc_u32 s36, s36, s40
	s_addc_u32 s37, s39, 0
	s_mul_i32 s1, s35, s1
	s_add_u32 s1, s36, s1
	s_addc_u32 s36, 0, s37
	s_add_u32 s37, s0, s1
	s_cselect_b64 s[0:1], -1, 0
	s_cmp_lg_u64 s[0:1], 0
	s_addc_u32 s35, s35, s36
	s_mul_i32 s0, s29, s35
	s_mul_hi_u32 s1, s29, s37
	s_add_i32 s0, s1, s0
	s_mul_i32 s34, s34, s37
	s_add_i32 s0, s0, s34
	s_mul_i32 s29, s29, s37
	s_mul_hi_u32 s34, s35, s29
	s_mul_i32 s36, s35, s29
	s_mul_i32 s39, s37, s0
	s_mul_hi_u32 s29, s37, s29
	s_mul_hi_u32 s38, s37, s0
	s_add_u32 s29, s29, s39
	s_addc_u32 s38, 0, s38
	s_add_u32 s29, s29, s36
	s_mul_hi_u32 s1, s35, s0
	s_addc_u32 s29, s38, s34
	s_addc_u32 s1, s1, 0
	s_mul_i32 s0, s35, s0
	s_add_u32 s0, s29, s0
	s_addc_u32 s29, 0, s1
	s_add_u32 s34, s37, s0
	s_cselect_b64 s[0:1], -1, 0
	s_cmp_lg_u64 s[0:1], 0
	v_add_co_u32_e32 v2, vcc, v0, v6
	s_addc_u32 s29, s35, s29
	v_xor_b32_e32 v7, v2, v6
	v_mad_u64_u32 v[2:3], s[0:1], v7, s29, 0
	v_mul_hi_u32 v5, v7, s34
	v_addc_co_u32_e32 v4, vcc, v1, v6, vcc
	v_xor_b32_e32 v8, v4, v6
	v_add_co_u32_e32 v9, vcc, v5, v2
	v_addc_co_u32_e32 v10, vcc, 0, v3, vcc
	v_mad_u64_u32 v[2:3], s[0:1], v8, s34, 0
	v_mad_u64_u32 v[4:5], s[0:1], v8, s29, 0
	v_add_co_u32_e32 v2, vcc, v9, v2
	v_addc_co_u32_e32 v2, vcc, v10, v3, vcc
	v_addc_co_u32_e32 v3, vcc, 0, v5, vcc
	v_add_co_u32_e32 v4, vcc, v2, v4
	v_addc_co_u32_e32 v5, vcc, 0, v3, vcc
	v_mul_lo_u32 v9, s31, v4
	v_mul_lo_u32 v10, s30, v5
	v_mad_u64_u32 v[2:3], s[0:1], s30, v4, 0
	v_add3_u32 v3, v3, v10, v9
	v_sub_u32_e32 v9, v8, v3
	v_mov_b32_e32 v10, s31
	v_sub_co_u32_e32 v2, vcc, v7, v2
	v_subb_co_u32_e64 v7, s[0:1], v9, v10, vcc
	v_subrev_co_u32_e64 v9, s[0:1], s30, v2
	v_subbrev_co_u32_e64 v7, s[0:1], 0, v7, s[0:1]
	v_cmp_le_u32_e64 s[0:1], s31, v7
	v_cndmask_b32_e64 v10, 0, -1, s[0:1]
	v_cmp_le_u32_e64 s[0:1], s30, v9
	v_cndmask_b32_e64 v9, 0, -1, s[0:1]
	v_cmp_eq_u32_e64 s[0:1], s31, v7
	v_cndmask_b32_e64 v7, v10, v9, s[0:1]
	v_add_co_u32_e64 v9, s[0:1], 2, v4
	v_subb_co_u32_e32 v3, vcc, v8, v3, vcc
	v_addc_co_u32_e64 v10, s[0:1], 0, v5, s[0:1]
	v_cmp_le_u32_e32 vcc, s31, v3
	v_add_co_u32_e64 v11, s[0:1], 1, v4
	v_cndmask_b32_e64 v8, 0, -1, vcc
	v_cmp_le_u32_e32 vcc, s30, v2
	v_addc_co_u32_e64 v12, s[0:1], 0, v5, s[0:1]
	v_cndmask_b32_e64 v2, 0, -1, vcc
	v_cmp_eq_u32_e32 vcc, s31, v3
	v_cmp_ne_u32_e64 s[0:1], 0, v7
	v_cndmask_b32_e32 v2, v8, v2, vcc
	v_cndmask_b32_e64 v7, v12, v10, s[0:1]
	v_cmp_ne_u32_e32 vcc, 0, v2
	v_cndmask_b32_e64 v3, v11, v9, s[0:1]
	v_cndmask_b32_e32 v2, v5, v7, vcc
	v_cndmask_b32_e32 v3, v4, v3, vcc
	v_xor_b32_e32 v5, s28, v6
	v_xor_b32_e32 v3, v3, v5
	;; [unrolled: 1-line block ×3, first 2 shown]
	v_sub_co_u32_e32 v4, vcc, v3, v5
	v_subb_co_u32_e32 v5, vcc, v2, v5, vcc
.LBB4_3:
	s_andn2_saveexec_b64 s[0:1], s[2:3]
	s_cbranch_execz .LBB4_5
; %bb.4:
	v_cvt_f32_u32_e32 v2, s33
	s_sub_i32 s2, 0, s33
	v_rcp_iflag_f32_e32 v2, v2
	v_mul_f32_e32 v2, 0x4f7ffffe, v2
	v_cvt_u32_f32_e32 v2, v2
	v_mul_lo_u32 v3, s2, v2
	v_mul_hi_u32 v3, v2, v3
	v_add_u32_e32 v2, v2, v3
	v_mul_hi_u32 v2, v0, v2
	v_mul_lo_u32 v3, v2, s33
	v_add_u32_e32 v4, 1, v2
	v_sub_u32_e32 v3, v0, v3
	v_subrev_u32_e32 v5, s33, v3
	v_cmp_le_u32_e32 vcc, s33, v3
	v_cndmask_b32_e32 v3, v3, v5, vcc
	v_cndmask_b32_e32 v2, v2, v4, vcc
	v_add_u32_e32 v4, 1, v2
	v_cmp_le_u32_e32 vcc, s33, v3
	v_cndmask_b32_e32 v4, v2, v4, vcc
	v_mov_b32_e32 v5, 0
.LBB4_5:
	s_or_b64 exec, exec, s[0:1]
	v_or_b32_e32 v3, s13, v5
	v_mov_b32_e32 v2, 0
	v_cmp_ne_u64_e32 vcc, 0, v[2:3]
                                        ; implicit-def: $vgpr2_vgpr3
	s_and_saveexec_b64 s[0:1], vcc
	s_xor_b64 s[2:3], exec, s[0:1]
	s_cbranch_execz .LBB4_7
; %bb.6:
	v_cvt_f32_u32_e32 v2, s12
	v_cvt_f32_u32_e32 v3, s13
	s_sub_u32 s28, 0, s12
	s_subb_u32 s29, 0, s13
	v_madmk_f32 v2, v3, 0x4f800000, v2
	v_rcp_f32_e32 v2, v2
	v_mul_f32_e32 v2, 0x5f7ffffc, v2
	v_mul_f32_e32 v3, 0x2f800000, v2
	v_trunc_f32_e32 v3, v3
	v_madmk_f32 v2, v3, 0xcf800000, v2
	v_cvt_u32_f32_e32 v3, v3
	v_cvt_u32_f32_e32 v2, v2
	v_readfirstlane_b32 s30, v3
	v_readfirstlane_b32 s0, v2
	s_mul_i32 s1, s28, s30
	s_mul_hi_u32 s33, s28, s0
	s_mul_i32 s31, s29, s0
	s_add_i32 s1, s33, s1
	s_mul_i32 s34, s28, s0
	s_add_i32 s1, s1, s31
	s_mul_i32 s33, s0, s1
	s_mul_hi_u32 s35, s0, s34
	s_mul_hi_u32 s31, s0, s1
	s_add_u32 s33, s35, s33
	s_addc_u32 s31, 0, s31
	s_mul_hi_u32 s36, s30, s34
	s_mul_i32 s34, s30, s34
	s_add_u32 s33, s33, s34
	s_mul_hi_u32 s35, s30, s1
	s_addc_u32 s31, s31, s36
	s_addc_u32 s33, s35, 0
	s_mul_i32 s1, s30, s1
	s_add_u32 s1, s31, s1
	s_addc_u32 s31, 0, s33
	s_add_u32 s33, s0, s1
	s_cselect_b64 s[0:1], -1, 0
	s_cmp_lg_u64 s[0:1], 0
	s_addc_u32 s30, s30, s31
	s_mul_i32 s0, s28, s30
	s_mul_hi_u32 s1, s28, s33
	s_add_i32 s0, s1, s0
	s_mul_i32 s29, s29, s33
	s_add_i32 s0, s0, s29
	s_mul_i32 s28, s28, s33
	s_mul_hi_u32 s29, s30, s28
	s_mul_i32 s31, s30, s28
	s_mul_i32 s35, s33, s0
	s_mul_hi_u32 s28, s33, s28
	s_mul_hi_u32 s34, s33, s0
	s_add_u32 s28, s28, s35
	s_addc_u32 s34, 0, s34
	s_add_u32 s28, s28, s31
	s_mul_hi_u32 s1, s30, s0
	s_addc_u32 s28, s34, s29
	s_addc_u32 s1, s1, 0
	s_mul_i32 s0, s30, s0
	s_add_u32 s0, s28, s0
	s_addc_u32 s28, 0, s1
	s_add_u32 s29, s33, s0
	s_cselect_b64 s[0:1], -1, 0
	s_cmp_lg_u64 s[0:1], 0
	s_addc_u32 s28, s30, s28
	v_mad_u64_u32 v[2:3], s[0:1], v4, s28, 0
	v_mul_hi_u32 v6, v4, s29
	v_add_co_u32_e32 v8, vcc, v6, v2
	v_addc_co_u32_e32 v9, vcc, 0, v3, vcc
	v_mad_u64_u32 v[2:3], s[0:1], v5, s29, 0
	v_mad_u64_u32 v[6:7], s[0:1], v5, s28, 0
	v_add_co_u32_e32 v2, vcc, v8, v2
	v_addc_co_u32_e32 v2, vcc, v9, v3, vcc
	v_addc_co_u32_e32 v3, vcc, 0, v7, vcc
	v_add_co_u32_e32 v2, vcc, v2, v6
	v_addc_co_u32_e32 v3, vcc, 0, v3, vcc
	v_mul_lo_u32 v6, s13, v2
	v_mul_lo_u32 v7, s12, v3
	v_mad_u64_u32 v[2:3], s[0:1], s12, v2, 0
	v_add3_u32 v3, v3, v7, v6
	v_sub_u32_e32 v6, v5, v3
	v_mov_b32_e32 v7, s13
	v_sub_co_u32_e32 v2, vcc, v4, v2
	v_subb_co_u32_e64 v4, s[0:1], v6, v7, vcc
	v_subrev_co_u32_e64 v6, s[0:1], s12, v2
	v_subbrev_co_u32_e64 v4, s[0:1], 0, v4, s[0:1]
	v_cmp_le_u32_e64 s[0:1], s13, v4
	v_subb_co_u32_e32 v3, vcc, v5, v3, vcc
	v_cndmask_b32_e64 v7, 0, -1, s[0:1]
	v_cmp_le_u32_e64 s[0:1], s12, v6
	v_cmp_le_u32_e32 vcc, s13, v3
	v_cndmask_b32_e64 v8, 0, -1, s[0:1]
	v_cmp_eq_u32_e64 s[0:1], s13, v4
	v_cndmask_b32_e64 v5, 0, -1, vcc
	v_cmp_le_u32_e32 vcc, s12, v2
	v_cndmask_b32_e64 v4, v7, v8, s[0:1]
	v_cndmask_b32_e64 v8, 0, -1, vcc
	v_cmp_eq_u32_e32 vcc, s13, v3
	v_subrev_co_u32_e64 v7, s[0:1], s12, v6
	v_cndmask_b32_e32 v3, v5, v8, vcc
	v_cmp_ne_u32_e32 vcc, 0, v4
	v_cndmask_b32_e32 v4, v6, v7, vcc
	v_cmp_ne_u32_e32 vcc, 0, v3
	v_cndmask_b32_e32 v2, v2, v4, vcc
                                        ; implicit-def: $vgpr4_vgpr5
.LBB4_7:
	s_andn2_saveexec_b64 s[0:1], s[2:3]
	s_cbranch_execz .LBB4_9
; %bb.8:
	v_cvt_f32_u32_e32 v2, s12
	s_sub_i32 s2, 0, s12
	v_rcp_iflag_f32_e32 v2, v2
	v_mul_f32_e32 v2, 0x4f7ffffe, v2
	v_cvt_u32_f32_e32 v2, v2
	v_mul_lo_u32 v3, s2, v2
	v_mul_hi_u32 v3, v2, v3
	v_add_u32_e32 v2, v2, v3
	v_mul_hi_u32 v2, v4, v2
	v_mul_lo_u32 v2, v2, s12
	v_sub_u32_e32 v2, v4, v2
	v_subrev_u32_e32 v3, s12, v2
	v_cmp_le_u32_e32 vcc, s12, v2
	v_cndmask_b32_e32 v2, v2, v3, vcc
	v_subrev_u32_e32 v3, s12, v2
	v_cmp_le_u32_e32 vcc, s12, v2
	v_cndmask_b32_e32 v2, v2, v3, vcc
.LBB4_9:
	s_or_b64 exec, exec, s[0:1]
	v_cvt_f32_u32_e32 v12, s24
	v_cvt_f32_u32_e32 v13, s25
	v_or_b32_e32 v4, s25, v1
	v_mov_b32_e32 v3, 0
	v_cmp_ne_u64_e32 vcc, 0, v[3:4]
                                        ; implicit-def: $vgpr3_vgpr4
	s_and_saveexec_b64 s[0:1], vcc
	s_xor_b64 s[2:3], exec, s[0:1]
	s_cbranch_execz .LBB4_11
; %bb.10:
	v_madmk_f32 v3, v13, 0x4f800000, v12
	v_rcp_f32_e32 v3, v3
	s_sub_u32 s28, 0, s24
	s_subb_u32 s29, 0, s25
	v_mul_f32_e32 v3, 0x5f7ffffc, v3
	v_mul_f32_e32 v4, 0x2f800000, v3
	v_trunc_f32_e32 v4, v4
	v_madmk_f32 v3, v4, 0xcf800000, v3
	v_cvt_u32_f32_e32 v4, v4
	v_cvt_u32_f32_e32 v3, v3
	v_readfirstlane_b32 s30, v4
	v_readfirstlane_b32 s0, v3
	s_mul_i32 s1, s28, s30
	s_mul_hi_u32 s33, s28, s0
	s_mul_i32 s31, s29, s0
	s_add_i32 s1, s33, s1
	s_add_i32 s1, s1, s31
	s_mul_i32 s34, s28, s0
	s_mul_i32 s33, s0, s1
	s_mul_hi_u32 s35, s0, s34
	s_mul_hi_u32 s31, s0, s1
	s_add_u32 s33, s35, s33
	s_addc_u32 s31, 0, s31
	s_mul_hi_u32 s36, s30, s34
	s_mul_i32 s34, s30, s34
	s_add_u32 s33, s33, s34
	s_mul_hi_u32 s35, s30, s1
	s_addc_u32 s31, s31, s36
	s_addc_u32 s33, s35, 0
	s_mul_i32 s1, s30, s1
	s_add_u32 s1, s31, s1
	s_addc_u32 s31, 0, s33
	s_add_u32 s33, s0, s1
	s_cselect_b64 s[0:1], -1, 0
	s_cmp_lg_u64 s[0:1], 0
	s_addc_u32 s30, s30, s31
	s_mul_i32 s0, s28, s30
	s_mul_hi_u32 s1, s28, s33
	s_add_i32 s0, s1, s0
	s_mul_i32 s29, s29, s33
	s_add_i32 s0, s0, s29
	s_mul_i32 s28, s28, s33
	s_mul_hi_u32 s29, s30, s28
	s_mul_i32 s31, s30, s28
	s_mul_i32 s35, s33, s0
	s_mul_hi_u32 s28, s33, s28
	s_mul_hi_u32 s34, s33, s0
	s_add_u32 s28, s28, s35
	s_addc_u32 s34, 0, s34
	s_add_u32 s28, s28, s31
	s_mul_hi_u32 s1, s30, s0
	s_addc_u32 s28, s34, s29
	s_addc_u32 s1, s1, 0
	s_mul_i32 s0, s30, s0
	s_add_u32 s0, s28, s0
	s_addc_u32 s28, 0, s1
	s_add_u32 s29, s33, s0
	s_cselect_b64 s[0:1], -1, 0
	s_cmp_lg_u64 s[0:1], 0
	s_addc_u32 s28, s30, s28
	v_mad_u64_u32 v[3:4], s[0:1], v0, s28, 0
	v_mul_hi_u32 v5, v0, s29
	v_add_co_u32_e32 v7, vcc, v5, v3
	v_addc_co_u32_e32 v8, vcc, 0, v4, vcc
	v_mad_u64_u32 v[3:4], s[0:1], v1, s29, 0
	v_mad_u64_u32 v[5:6], s[0:1], v1, s28, 0
	v_add_co_u32_e32 v3, vcc, v7, v3
	v_addc_co_u32_e32 v3, vcc, v8, v4, vcc
	v_addc_co_u32_e32 v4, vcc, 0, v6, vcc
	v_add_co_u32_e32 v5, vcc, v3, v5
	v_addc_co_u32_e32 v6, vcc, 0, v4, vcc
	v_mul_lo_u32 v7, s25, v5
	v_mul_lo_u32 v8, s24, v6
	v_mad_u64_u32 v[3:4], s[0:1], s24, v5, 0
	v_add3_u32 v4, v4, v8, v7
	v_sub_u32_e32 v7, v1, v4
	v_mov_b32_e32 v8, s25
	v_sub_co_u32_e32 v3, vcc, v0, v3
	v_subb_co_u32_e64 v7, s[0:1], v7, v8, vcc
	v_subrev_co_u32_e64 v8, s[0:1], s24, v3
	v_subbrev_co_u32_e64 v7, s[0:1], 0, v7, s[0:1]
	v_cmp_le_u32_e64 s[0:1], s25, v7
	v_cndmask_b32_e64 v9, 0, -1, s[0:1]
	v_cmp_le_u32_e64 s[0:1], s24, v8
	v_cndmask_b32_e64 v8, 0, -1, s[0:1]
	v_cmp_eq_u32_e64 s[0:1], s25, v7
	v_cndmask_b32_e64 v7, v9, v8, s[0:1]
	v_add_co_u32_e64 v8, s[0:1], 2, v5
	v_addc_co_u32_e64 v9, s[0:1], 0, v6, s[0:1]
	v_add_co_u32_e64 v10, s[0:1], 1, v5
	v_addc_co_u32_e64 v11, s[0:1], 0, v6, s[0:1]
	v_subb_co_u32_e32 v4, vcc, v1, v4, vcc
	v_cmp_ne_u32_e64 s[0:1], 0, v7
	v_cmp_le_u32_e32 vcc, s25, v4
	v_cndmask_b32_e64 v7, v11, v9, s[0:1]
	v_cndmask_b32_e64 v9, 0, -1, vcc
	v_cmp_le_u32_e32 vcc, s24, v3
	v_cndmask_b32_e64 v3, 0, -1, vcc
	v_cmp_eq_u32_e32 vcc, s25, v4
	v_cndmask_b32_e32 v3, v9, v3, vcc
	v_cmp_ne_u32_e32 vcc, 0, v3
	v_cndmask_b32_e64 v3, v10, v8, s[0:1]
	v_cndmask_b32_e32 v4, v6, v7, vcc
	v_cndmask_b32_e32 v3, v5, v3, vcc
.LBB4_11:
	s_or_saveexec_b64 s[0:1], s[2:3]
	v_cvt_f32_u32_e32 v14, s24
	s_xor_b64 exec, exec, s[0:1]
	s_cbranch_execz .LBB4_13
; %bb.12:
	v_rcp_iflag_f32_e32 v3, v14
	s_sub_i32 s2, 0, s24
	v_mul_f32_e32 v3, 0x4f7ffffe, v3
	v_cvt_u32_f32_e32 v3, v3
	v_mul_lo_u32 v4, s2, v3
	v_mul_hi_u32 v4, v3, v4
	v_add_u32_e32 v3, v3, v4
	v_mul_hi_u32 v3, v0, v3
	v_mul_lo_u32 v4, v3, s24
	v_add_u32_e32 v5, 1, v3
	v_sub_u32_e32 v4, v0, v4
	v_subrev_u32_e32 v6, s24, v4
	v_cmp_le_u32_e32 vcc, s24, v4
	v_cndmask_b32_e32 v4, v4, v6, vcc
	v_cndmask_b32_e32 v3, v3, v5, vcc
	v_add_u32_e32 v5, 1, v3
	v_cmp_le_u32_e32 vcc, s24, v4
	v_cndmask_b32_e32 v3, v3, v5, vcc
	v_mov_b32_e32 v4, 0
.LBB4_13:
	s_or_b64 exec, exec, s[0:1]
	v_cvt_f32_u32_e32 v9, s22
	v_cvt_f32_u32_e32 v10, s23
	v_or_b32_e32 v6, s23, v1
	v_mov_b32_e32 v5, 0
	v_cmp_ne_u64_e32 vcc, 0, v[5:6]
                                        ; implicit-def: $vgpr5_vgpr6
	s_and_saveexec_b64 s[0:1], vcc
	s_xor_b64 s[2:3], exec, s[0:1]
	s_cbranch_execz .LBB4_15
; %bb.14:
	v_madmk_f32 v5, v10, 0x4f800000, v9
	v_rcp_f32_e32 v5, v5
	s_sub_u32 s28, 0, s22
	s_subb_u32 s29, 0, s23
	v_mul_f32_e32 v5, 0x5f7ffffc, v5
	v_mul_f32_e32 v6, 0x2f800000, v5
	v_trunc_f32_e32 v6, v6
	v_madmk_f32 v5, v6, 0xcf800000, v5
	v_cvt_u32_f32_e32 v6, v6
	v_cvt_u32_f32_e32 v5, v5
	v_readfirstlane_b32 s30, v6
	v_readfirstlane_b32 s0, v5
	s_mul_i32 s1, s28, s30
	s_mul_hi_u32 s33, s28, s0
	s_mul_i32 s31, s29, s0
	s_add_i32 s1, s33, s1
	s_add_i32 s1, s1, s31
	s_mul_i32 s34, s28, s0
	s_mul_i32 s33, s0, s1
	s_mul_hi_u32 s35, s0, s34
	s_mul_hi_u32 s31, s0, s1
	s_add_u32 s33, s35, s33
	s_addc_u32 s31, 0, s31
	s_mul_hi_u32 s36, s30, s34
	s_mul_i32 s34, s30, s34
	s_add_u32 s33, s33, s34
	s_mul_hi_u32 s35, s30, s1
	s_addc_u32 s31, s31, s36
	s_addc_u32 s33, s35, 0
	s_mul_i32 s1, s30, s1
	s_add_u32 s1, s31, s1
	s_addc_u32 s31, 0, s33
	s_add_u32 s33, s0, s1
	s_cselect_b64 s[0:1], -1, 0
	s_cmp_lg_u64 s[0:1], 0
	s_addc_u32 s30, s30, s31
	s_mul_i32 s0, s28, s30
	s_mul_hi_u32 s1, s28, s33
	s_add_i32 s0, s1, s0
	s_mul_i32 s29, s29, s33
	s_add_i32 s0, s0, s29
	s_mul_i32 s28, s28, s33
	s_mul_hi_u32 s29, s30, s28
	s_mul_i32 s31, s30, s28
	s_mul_i32 s35, s33, s0
	s_mul_hi_u32 s28, s33, s28
	s_mul_hi_u32 s34, s33, s0
	s_add_u32 s28, s28, s35
	s_addc_u32 s34, 0, s34
	s_add_u32 s28, s28, s31
	s_mul_hi_u32 s1, s30, s0
	s_addc_u32 s28, s34, s29
	s_addc_u32 s1, s1, 0
	s_mul_i32 s0, s30, s0
	s_add_u32 s0, s28, s0
	s_addc_u32 s28, 0, s1
	s_add_u32 s29, s33, s0
	s_cselect_b64 s[0:1], -1, 0
	s_cmp_lg_u64 s[0:1], 0
	s_addc_u32 s28, s30, s28
	v_mad_u64_u32 v[5:6], s[0:1], v0, s28, 0
	v_mul_hi_u32 v7, v0, s29
	v_add_co_u32_e32 v11, vcc, v7, v5
	v_addc_co_u32_e32 v15, vcc, 0, v6, vcc
	v_mad_u64_u32 v[5:6], s[0:1], v1, s29, 0
	v_mad_u64_u32 v[7:8], s[0:1], v1, s28, 0
	v_add_co_u32_e32 v5, vcc, v11, v5
	v_addc_co_u32_e32 v5, vcc, v15, v6, vcc
	v_addc_co_u32_e32 v6, vcc, 0, v8, vcc
	v_add_co_u32_e32 v7, vcc, v5, v7
	v_addc_co_u32_e32 v8, vcc, 0, v6, vcc
	v_mul_lo_u32 v11, s23, v7
	v_mul_lo_u32 v15, s22, v8
	v_mad_u64_u32 v[5:6], s[0:1], s22, v7, 0
	v_add3_u32 v6, v6, v15, v11
	v_sub_u32_e32 v11, v1, v6
	v_mov_b32_e32 v15, s23
	v_sub_co_u32_e32 v5, vcc, v0, v5
	v_subb_co_u32_e64 v11, s[0:1], v11, v15, vcc
	v_subrev_co_u32_e64 v15, s[0:1], s22, v5
	v_subbrev_co_u32_e64 v11, s[0:1], 0, v11, s[0:1]
	v_cmp_le_u32_e64 s[0:1], s23, v11
	v_cndmask_b32_e64 v16, 0, -1, s[0:1]
	v_cmp_le_u32_e64 s[0:1], s22, v15
	v_cndmask_b32_e64 v15, 0, -1, s[0:1]
	v_cmp_eq_u32_e64 s[0:1], s23, v11
	v_cndmask_b32_e64 v11, v16, v15, s[0:1]
	v_add_co_u32_e64 v15, s[0:1], 2, v7
	v_addc_co_u32_e64 v16, s[0:1], 0, v8, s[0:1]
	v_add_co_u32_e64 v17, s[0:1], 1, v7
	v_addc_co_u32_e64 v18, s[0:1], 0, v8, s[0:1]
	v_subb_co_u32_e32 v6, vcc, v1, v6, vcc
	v_cmp_ne_u32_e64 s[0:1], 0, v11
	v_cmp_le_u32_e32 vcc, s23, v6
	v_cndmask_b32_e64 v11, v18, v16, s[0:1]
	v_cndmask_b32_e64 v16, 0, -1, vcc
	v_cmp_le_u32_e32 vcc, s22, v5
	v_cndmask_b32_e64 v5, 0, -1, vcc
	v_cmp_eq_u32_e32 vcc, s23, v6
	v_cndmask_b32_e32 v5, v16, v5, vcc
	v_cmp_ne_u32_e32 vcc, 0, v5
	v_cndmask_b32_e64 v5, v17, v15, s[0:1]
	v_cndmask_b32_e32 v6, v8, v11, vcc
	v_cndmask_b32_e32 v5, v7, v5, vcc
.LBB4_15:
	s_or_saveexec_b64 s[0:1], s[2:3]
	v_cvt_f32_u32_e32 v11, s22
	s_xor_b64 exec, exec, s[0:1]
	s_cbranch_execz .LBB4_17
; %bb.16:
	v_rcp_iflag_f32_e32 v5, v11
	s_sub_i32 s2, 0, s22
	v_mul_f32_e32 v5, 0x4f7ffffe, v5
	v_cvt_u32_f32_e32 v5, v5
	v_mul_lo_u32 v6, s2, v5
	v_mul_hi_u32 v6, v5, v6
	v_add_u32_e32 v5, v5, v6
	v_mul_hi_u32 v5, v0, v5
	v_mul_lo_u32 v6, v5, s22
	v_add_u32_e32 v7, 1, v5
	v_sub_u32_e32 v6, v0, v6
	v_subrev_u32_e32 v8, s22, v6
	v_cmp_le_u32_e32 vcc, s22, v6
	v_cndmask_b32_e32 v6, v6, v8, vcc
	v_cndmask_b32_e32 v5, v5, v7, vcc
	v_add_u32_e32 v7, 1, v5
	v_cmp_le_u32_e32 vcc, s22, v6
	v_cndmask_b32_e32 v5, v5, v7, vcc
	v_mov_b32_e32 v6, 0
.LBB4_17:
	s_or_b64 exec, exec, s[0:1]
	v_or_b32_e32 v8, s25, v6
	v_mov_b32_e32 v7, 0
	v_cmp_ne_u64_e32 vcc, 0, v[7:8]
                                        ; implicit-def: $vgpr7_vgpr8
	s_and_saveexec_b64 s[0:1], vcc
	s_xor_b64 s[2:3], exec, s[0:1]
	s_cbranch_execz .LBB4_19
; %bb.18:
	v_madmk_f32 v7, v13, 0x4f800000, v12
	v_rcp_f32_e32 v7, v7
	s_sub_u32 s28, 0, s24
	s_subb_u32 s29, 0, s25
	v_mul_f32_e32 v7, 0x5f7ffffc, v7
	v_mul_f32_e32 v8, 0x2f800000, v7
	v_trunc_f32_e32 v8, v8
	v_madmk_f32 v7, v8, 0xcf800000, v7
	v_cvt_u32_f32_e32 v8, v8
	v_cvt_u32_f32_e32 v7, v7
	v_readfirstlane_b32 s30, v8
	v_readfirstlane_b32 s0, v7
	s_mul_i32 s1, s28, s30
	s_mul_hi_u32 s33, s28, s0
	s_mul_i32 s31, s29, s0
	s_add_i32 s1, s33, s1
	s_add_i32 s1, s1, s31
	s_mul_i32 s34, s28, s0
	s_mul_i32 s33, s0, s1
	s_mul_hi_u32 s35, s0, s34
	s_mul_hi_u32 s31, s0, s1
	s_add_u32 s33, s35, s33
	s_addc_u32 s31, 0, s31
	s_mul_hi_u32 s36, s30, s34
	s_mul_i32 s34, s30, s34
	s_add_u32 s33, s33, s34
	s_mul_hi_u32 s35, s30, s1
	s_addc_u32 s31, s31, s36
	s_addc_u32 s33, s35, 0
	s_mul_i32 s1, s30, s1
	s_add_u32 s1, s31, s1
	s_addc_u32 s31, 0, s33
	s_add_u32 s33, s0, s1
	s_cselect_b64 s[0:1], -1, 0
	s_cmp_lg_u64 s[0:1], 0
	s_addc_u32 s30, s30, s31
	s_mul_i32 s0, s28, s30
	s_mul_hi_u32 s1, s28, s33
	s_add_i32 s0, s1, s0
	s_mul_i32 s29, s29, s33
	s_add_i32 s0, s0, s29
	s_mul_i32 s28, s28, s33
	s_mul_hi_u32 s29, s30, s28
	s_mul_i32 s31, s30, s28
	s_mul_i32 s35, s33, s0
	s_mul_hi_u32 s28, s33, s28
	s_mul_hi_u32 s34, s33, s0
	s_add_u32 s28, s28, s35
	s_addc_u32 s34, 0, s34
	s_add_u32 s28, s28, s31
	s_mul_hi_u32 s1, s30, s0
	s_addc_u32 s28, s34, s29
	s_addc_u32 s1, s1, 0
	s_mul_i32 s0, s30, s0
	s_add_u32 s0, s28, s0
	s_addc_u32 s28, 0, s1
	s_add_u32 s29, s33, s0
	s_cselect_b64 s[0:1], -1, 0
	s_cmp_lg_u64 s[0:1], 0
	s_addc_u32 s28, s30, s28
	v_mad_u64_u32 v[7:8], s[0:1], v5, s28, 0
	v_mul_hi_u32 v12, v5, s29
	v_add_co_u32_e32 v14, vcc, v12, v7
	v_addc_co_u32_e32 v15, vcc, 0, v8, vcc
	v_mad_u64_u32 v[7:8], s[0:1], v6, s29, 0
	v_mad_u64_u32 v[12:13], s[0:1], v6, s28, 0
	v_add_co_u32_e32 v7, vcc, v14, v7
	v_addc_co_u32_e32 v7, vcc, v15, v8, vcc
	v_addc_co_u32_e32 v8, vcc, 0, v13, vcc
	v_add_co_u32_e32 v12, vcc, v7, v12
	v_addc_co_u32_e32 v13, vcc, 0, v8, vcc
	v_mul_lo_u32 v14, s25, v12
	v_mul_lo_u32 v15, s24, v13
	v_mad_u64_u32 v[7:8], s[0:1], s24, v12, 0
	v_add3_u32 v8, v8, v15, v14
	v_sub_u32_e32 v14, v6, v8
	v_mov_b32_e32 v15, s25
	v_sub_co_u32_e32 v5, vcc, v5, v7
	v_subb_co_u32_e64 v7, s[0:1], v14, v15, vcc
	v_subrev_co_u32_e64 v14, s[0:1], s24, v5
	v_subbrev_co_u32_e64 v7, s[0:1], 0, v7, s[0:1]
	v_cmp_le_u32_e64 s[0:1], s25, v7
	v_cndmask_b32_e64 v15, 0, -1, s[0:1]
	v_cmp_le_u32_e64 s[0:1], s24, v14
	v_cndmask_b32_e64 v14, 0, -1, s[0:1]
	v_cmp_eq_u32_e64 s[0:1], s25, v7
	v_cndmask_b32_e64 v7, v15, v14, s[0:1]
	v_add_co_u32_e64 v14, s[0:1], 2, v12
	v_subb_co_u32_e32 v6, vcc, v6, v8, vcc
	v_addc_co_u32_e64 v15, s[0:1], 0, v13, s[0:1]
	v_cmp_le_u32_e32 vcc, s25, v6
	v_add_co_u32_e64 v16, s[0:1], 1, v12
	v_cndmask_b32_e64 v8, 0, -1, vcc
	v_cmp_le_u32_e32 vcc, s24, v5
	v_addc_co_u32_e64 v17, s[0:1], 0, v13, s[0:1]
	v_cndmask_b32_e64 v5, 0, -1, vcc
	v_cmp_eq_u32_e32 vcc, s25, v6
	v_cmp_ne_u32_e64 s[0:1], 0, v7
	v_cndmask_b32_e32 v5, v8, v5, vcc
	v_cndmask_b32_e64 v7, v17, v15, s[0:1]
	v_cmp_ne_u32_e32 vcc, 0, v5
	v_cndmask_b32_e64 v5, v16, v14, s[0:1]
	v_cndmask_b32_e32 v8, v13, v7, vcc
	v_cndmask_b32_e32 v7, v12, v5, vcc
                                        ; implicit-def: $vgpr14
                                        ; implicit-def: $vgpr5_vgpr6
.LBB4_19:
	s_andn2_saveexec_b64 s[0:1], s[2:3]
	s_cbranch_execz .LBB4_21
; %bb.20:
	v_rcp_iflag_f32_e32 v6, v14
	s_sub_i32 s2, 0, s24
	v_mul_f32_e32 v6, 0x4f7ffffe, v6
	v_cvt_u32_f32_e32 v6, v6
	v_mul_lo_u32 v7, s2, v6
	v_mul_hi_u32 v7, v6, v7
	v_add_u32_e32 v6, v6, v7
	v_mul_hi_u32 v6, v5, v6
	v_mul_lo_u32 v7, v6, s24
	v_add_u32_e32 v8, 1, v6
	v_sub_u32_e32 v5, v5, v7
	v_subrev_u32_e32 v7, s24, v5
	v_cmp_le_u32_e32 vcc, s24, v5
	v_cndmask_b32_e32 v5, v5, v7, vcc
	v_cndmask_b32_e32 v6, v6, v8, vcc
	v_add_u32_e32 v7, 1, v6
	v_cmp_le_u32_e32 vcc, s24, v5
	v_cndmask_b32_e32 v7, v6, v7, vcc
	v_mov_b32_e32 v8, 0
.LBB4_21:
	s_or_b64 exec, exec, s[0:1]
	v_or_b32_e32 v6, s21, v8
	v_mov_b32_e32 v5, 0
	v_cmp_ne_u64_e32 vcc, 0, v[5:6]
                                        ; implicit-def: $vgpr5_vgpr6
	s_and_saveexec_b64 s[0:1], vcc
	s_xor_b64 s[2:3], exec, s[0:1]
	s_cbranch_execz .LBB4_23
; %bb.22:
	v_cvt_f32_u32_e32 v5, s20
	v_cvt_f32_u32_e32 v6, s21
	s_sub_u32 s25, 0, s20
	s_subb_u32 s28, 0, s21
	v_madmk_f32 v5, v6, 0x4f800000, v5
	v_rcp_f32_e32 v5, v5
	v_mul_f32_e32 v5, 0x5f7ffffc, v5
	v_mul_f32_e32 v6, 0x2f800000, v5
	v_trunc_f32_e32 v6, v6
	v_madmk_f32 v5, v6, 0xcf800000, v5
	v_cvt_u32_f32_e32 v6, v6
	v_cvt_u32_f32_e32 v5, v5
	v_readfirstlane_b32 s29, v6
	v_readfirstlane_b32 s0, v5
	s_mul_i32 s1, s25, s29
	s_mul_hi_u32 s31, s25, s0
	s_mul_i32 s30, s28, s0
	s_add_i32 s1, s31, s1
	s_mul_i32 s33, s25, s0
	s_add_i32 s1, s1, s30
	s_mul_i32 s31, s0, s1
	s_mul_hi_u32 s34, s0, s33
	s_mul_hi_u32 s30, s0, s1
	s_add_u32 s31, s34, s31
	s_addc_u32 s30, 0, s30
	s_mul_hi_u32 s35, s29, s33
	s_mul_i32 s33, s29, s33
	s_add_u32 s31, s31, s33
	s_mul_hi_u32 s34, s29, s1
	s_addc_u32 s30, s30, s35
	s_addc_u32 s31, s34, 0
	s_mul_i32 s1, s29, s1
	s_add_u32 s1, s30, s1
	s_addc_u32 s30, 0, s31
	s_add_u32 s31, s0, s1
	s_cselect_b64 s[0:1], -1, 0
	s_cmp_lg_u64 s[0:1], 0
	s_addc_u32 s29, s29, s30
	s_mul_i32 s0, s25, s29
	s_mul_hi_u32 s1, s25, s31
	s_add_i32 s0, s1, s0
	s_mul_i32 s28, s28, s31
	s_add_i32 s0, s0, s28
	s_mul_i32 s25, s25, s31
	s_mul_hi_u32 s28, s29, s25
	s_mul_i32 s30, s29, s25
	s_mul_i32 s34, s31, s0
	s_mul_hi_u32 s25, s31, s25
	s_mul_hi_u32 s33, s31, s0
	s_add_u32 s25, s25, s34
	s_addc_u32 s33, 0, s33
	s_add_u32 s25, s25, s30
	s_mul_hi_u32 s1, s29, s0
	s_addc_u32 s25, s33, s28
	s_addc_u32 s1, s1, 0
	s_mul_i32 s0, s29, s0
	s_add_u32 s0, s25, s0
	s_addc_u32 s25, 0, s1
	s_add_u32 s28, s31, s0
	s_cselect_b64 s[0:1], -1, 0
	s_cmp_lg_u64 s[0:1], 0
	s_addc_u32 s25, s29, s25
	v_mad_u64_u32 v[5:6], s[0:1], v7, s25, 0
	v_mul_hi_u32 v12, v7, s28
	v_add_co_u32_e32 v14, vcc, v12, v5
	v_addc_co_u32_e32 v15, vcc, 0, v6, vcc
	v_mad_u64_u32 v[5:6], s[0:1], v8, s28, 0
	v_mad_u64_u32 v[12:13], s[0:1], v8, s25, 0
	v_add_co_u32_e32 v5, vcc, v14, v5
	v_addc_co_u32_e32 v5, vcc, v15, v6, vcc
	v_addc_co_u32_e32 v6, vcc, 0, v13, vcc
	v_add_co_u32_e32 v5, vcc, v5, v12
	v_addc_co_u32_e32 v6, vcc, 0, v6, vcc
	v_mul_lo_u32 v12, s21, v5
	v_mul_lo_u32 v13, s20, v6
	v_mad_u64_u32 v[5:6], s[0:1], s20, v5, 0
	v_add3_u32 v6, v6, v13, v12
	v_sub_u32_e32 v12, v8, v6
	v_mov_b32_e32 v13, s21
	v_sub_co_u32_e32 v5, vcc, v7, v5
	v_subb_co_u32_e64 v7, s[0:1], v12, v13, vcc
	v_subrev_co_u32_e64 v12, s[0:1], s20, v5
	v_subbrev_co_u32_e64 v7, s[0:1], 0, v7, s[0:1]
	v_cmp_le_u32_e64 s[0:1], s21, v7
	v_subb_co_u32_e32 v6, vcc, v8, v6, vcc
	v_cndmask_b32_e64 v13, 0, -1, s[0:1]
	v_cmp_le_u32_e64 s[0:1], s20, v12
	v_cmp_le_u32_e32 vcc, s21, v6
	v_cndmask_b32_e64 v14, 0, -1, s[0:1]
	v_cmp_eq_u32_e64 s[0:1], s21, v7
	v_cndmask_b32_e64 v8, 0, -1, vcc
	v_cmp_le_u32_e32 vcc, s20, v5
	v_cndmask_b32_e64 v7, v13, v14, s[0:1]
	v_cndmask_b32_e64 v14, 0, -1, vcc
	v_cmp_eq_u32_e32 vcc, s21, v6
	v_subrev_co_u32_e64 v13, s[0:1], s20, v12
	v_cndmask_b32_e32 v6, v8, v14, vcc
	v_cmp_ne_u32_e32 vcc, 0, v7
	v_cndmask_b32_e32 v7, v12, v13, vcc
	v_cmp_ne_u32_e32 vcc, 0, v6
	v_cndmask_b32_e32 v5, v5, v7, vcc
                                        ; implicit-def: $vgpr7_vgpr8
.LBB4_23:
	s_andn2_saveexec_b64 s[0:1], s[2:3]
	s_cbranch_execz .LBB4_25
; %bb.24:
	v_cvt_f32_u32_e32 v5, s20
	s_sub_i32 s2, 0, s20
	v_rcp_iflag_f32_e32 v5, v5
	v_mul_f32_e32 v5, 0x4f7ffffe, v5
	v_cvt_u32_f32_e32 v5, v5
	v_mul_lo_u32 v6, s2, v5
	v_mul_hi_u32 v6, v5, v6
	v_add_u32_e32 v5, v5, v6
	v_mul_hi_u32 v5, v7, v5
	v_mul_lo_u32 v5, v5, s20
	v_sub_u32_e32 v5, v7, v5
	v_subrev_u32_e32 v6, s20, v5
	v_cmp_le_u32_e32 vcc, s20, v5
	v_cndmask_b32_e32 v5, v5, v6, vcc
	v_subrev_u32_e32 v6, s20, v5
	v_cmp_le_u32_e32 vcc, s20, v5
	v_cndmask_b32_e32 v5, v5, v6, vcc
.LBB4_25:
	s_or_b64 exec, exec, s[0:1]
	v_or_b32_e32 v7, s23, v4
	v_mov_b32_e32 v6, 0
	v_cmp_ne_u64_e32 vcc, 0, v[6:7]
                                        ; implicit-def: $vgpr6_vgpr7
	s_and_saveexec_b64 s[0:1], vcc
	s_xor_b64 s[2:3], exec, s[0:1]
	s_cbranch_execz .LBB4_27
; %bb.26:
	v_madmk_f32 v6, v10, 0x4f800000, v9
	v_rcp_f32_e32 v6, v6
	s_sub_u32 s20, 0, s22
	s_subb_u32 s21, 0, s23
	v_mul_f32_e32 v6, 0x5f7ffffc, v6
	v_mul_f32_e32 v7, 0x2f800000, v6
	v_trunc_f32_e32 v7, v7
	v_madmk_f32 v6, v7, 0xcf800000, v6
	v_cvt_u32_f32_e32 v7, v7
	v_cvt_u32_f32_e32 v6, v6
	v_readfirstlane_b32 s25, v7
	v_readfirstlane_b32 s0, v6
	s_mul_i32 s1, s20, s25
	s_mul_hi_u32 s29, s20, s0
	s_mul_i32 s28, s21, s0
	s_add_i32 s1, s29, s1
	s_add_i32 s1, s1, s28
	s_mul_i32 s30, s20, s0
	s_mul_i32 s29, s0, s1
	s_mul_hi_u32 s31, s0, s30
	s_mul_hi_u32 s28, s0, s1
	s_add_u32 s29, s31, s29
	s_addc_u32 s28, 0, s28
	s_mul_hi_u32 s33, s25, s30
	s_mul_i32 s30, s25, s30
	s_add_u32 s29, s29, s30
	s_mul_hi_u32 s31, s25, s1
	s_addc_u32 s28, s28, s33
	s_addc_u32 s29, s31, 0
	s_mul_i32 s1, s25, s1
	s_add_u32 s1, s28, s1
	s_addc_u32 s28, 0, s29
	s_add_u32 s29, s0, s1
	s_cselect_b64 s[0:1], -1, 0
	s_cmp_lg_u64 s[0:1], 0
	s_addc_u32 s25, s25, s28
	s_mul_i32 s0, s20, s25
	s_mul_hi_u32 s1, s20, s29
	s_add_i32 s0, s1, s0
	s_mul_i32 s21, s21, s29
	s_add_i32 s0, s0, s21
	s_mul_i32 s20, s20, s29
	s_mul_hi_u32 s21, s25, s20
	s_mul_i32 s28, s25, s20
	s_mul_i32 s31, s29, s0
	s_mul_hi_u32 s20, s29, s20
	s_mul_hi_u32 s30, s29, s0
	s_add_u32 s20, s20, s31
	s_addc_u32 s30, 0, s30
	s_add_u32 s20, s20, s28
	s_mul_hi_u32 s1, s25, s0
	s_addc_u32 s20, s30, s21
	s_addc_u32 s1, s1, 0
	s_mul_i32 s0, s25, s0
	s_add_u32 s0, s20, s0
	s_addc_u32 s20, 0, s1
	s_add_u32 s21, s29, s0
	s_cselect_b64 s[0:1], -1, 0
	s_cmp_lg_u64 s[0:1], 0
	s_addc_u32 s20, s25, s20
	v_mad_u64_u32 v[6:7], s[0:1], v3, s20, 0
	v_mul_hi_u32 v8, v3, s21
	v_add_co_u32_e32 v10, vcc, v8, v6
	v_addc_co_u32_e32 v11, vcc, 0, v7, vcc
	v_mad_u64_u32 v[6:7], s[0:1], v4, s21, 0
	v_mad_u64_u32 v[8:9], s[0:1], v4, s20, 0
	v_add_co_u32_e32 v6, vcc, v10, v6
	v_addc_co_u32_e32 v6, vcc, v11, v7, vcc
	v_addc_co_u32_e32 v7, vcc, 0, v9, vcc
	v_add_co_u32_e32 v6, vcc, v6, v8
	v_addc_co_u32_e32 v7, vcc, 0, v7, vcc
	v_mul_lo_u32 v8, s23, v6
	v_mul_lo_u32 v9, s22, v7
	v_mad_u64_u32 v[6:7], s[0:1], s22, v6, 0
	v_add3_u32 v7, v7, v9, v8
	v_sub_u32_e32 v8, v4, v7
	v_mov_b32_e32 v9, s23
	v_sub_co_u32_e32 v6, vcc, v3, v6
	v_subb_co_u32_e64 v8, s[0:1], v8, v9, vcc
	v_subrev_co_u32_e64 v9, s[0:1], s22, v6
	v_subbrev_co_u32_e64 v8, s[0:1], 0, v8, s[0:1]
	v_cmp_le_u32_e64 s[0:1], s23, v8
	v_subb_co_u32_e32 v4, vcc, v4, v7, vcc
	v_cndmask_b32_e64 v10, 0, -1, s[0:1]
	v_cmp_le_u32_e64 s[0:1], s22, v9
	v_cmp_le_u32_e32 vcc, s23, v4
	v_cndmask_b32_e64 v11, 0, -1, s[0:1]
	v_cmp_eq_u32_e64 s[0:1], s23, v8
	v_cndmask_b32_e64 v7, 0, -1, vcc
	v_cmp_le_u32_e32 vcc, s22, v6
	v_cndmask_b32_e64 v8, v10, v11, s[0:1]
	v_cndmask_b32_e64 v11, 0, -1, vcc
	v_cmp_eq_u32_e32 vcc, s23, v4
	v_subrev_co_u32_e64 v10, s[0:1], s22, v9
	v_cndmask_b32_e32 v4, v7, v11, vcc
	v_cmp_ne_u32_e32 vcc, 0, v8
	v_cndmask_b32_e32 v7, v9, v10, vcc
	v_cmp_ne_u32_e32 vcc, 0, v4
	v_cndmask_b32_e32 v6, v6, v7, vcc
                                        ; implicit-def: $vgpr11
.LBB4_27:
	s_andn2_saveexec_b64 s[0:1], s[2:3]
	s_cbranch_execz .LBB4_29
; %bb.28:
	v_rcp_iflag_f32_e32 v4, v11
	s_sub_i32 s2, 0, s22
	v_mul_f32_e32 v4, 0x4f7ffffe, v4
	v_cvt_u32_f32_e32 v4, v4
	v_mul_lo_u32 v6, s2, v4
	v_mul_hi_u32 v6, v4, v6
	v_add_u32_e32 v4, v4, v6
	v_mul_hi_u32 v4, v3, v4
	v_mul_lo_u32 v4, v4, s22
	v_sub_u32_e32 v4, v3, v4
	v_subrev_u32_e32 v6, s22, v4
	v_cmp_le_u32_e32 vcc, s22, v4
	v_cndmask_b32_e32 v4, v4, v6, vcc
	v_subrev_u32_e32 v6, s22, v4
	v_cmp_le_u32_e32 vcc, s22, v4
	v_cndmask_b32_e32 v6, v4, v6, vcc
.LBB4_29:
	s_or_b64 exec, exec, s[0:1]
	s_load_dwordx4 s[0:3], s[4:5], 0x50
	v_mul_lo_u32 v3, v3, s24
	v_cvt_f32_i32_e32 v4, v5
	v_cvt_f32_i32_e32 v6, v6
	s_waitcnt lgkmcnt(0)
	s_add_i32 s3, s14, -1
	v_sub_u32_e32 v3, v0, v3
	v_mul_f32_e32 v4, s0, v4
	v_cvt_f32_i32_e32 v3, v3
	v_floor_f32_e32 v4, v4
	v_cvt_i32_f32_e32 v4, v4
	s_mul_i32 s4, s18, s17
	v_mul_f32_e32 v3, s2, v3
	s_mul_hi_u32 s0, s18, s16
	v_floor_f32_e32 v3, v3
	s_mul_i32 s5, s19, s16
	s_add_i32 s0, s0, s4
	v_min_i32_e32 v7, s3, v4
	s_mul_i32 s3, s18, s16
	v_cvt_i32_f32_e32 v3, v3
	s_add_i32 s0, s0, s5
	s_mul_i32 s4, s3, s15
	s_mul_hi_u32 s5, s3, s14
	s_add_i32 s4, s5, s4
	s_mul_i32 s0, s0, s14
	v_mul_f32_e32 v6, s1, v6
	s_add_i32 s4, s4, s0
	s_add_i32 s0, s18, -1
	v_floor_f32_e32 v6, v6
	v_min_i32_e32 v3, s0, v3
	v_cvt_i32_f32_e32 v6, v6
	s_mul_i32 s2, s3, s14
	v_ashrrev_i32_e32 v4, 31, v3
	v_ashrrev_i32_e32 v5, 31, v2
	v_mul_lo_u32 v9, v2, s4
	v_mad_u64_u32 v[2:3], s[0:1], v2, s2, v[3:4]
	s_add_i32 s0, s16, -1
	v_min_i32_e32 v4, s0, v6
	v_ashrrev_i32_e32 v8, 31, v7
	v_mul_lo_u32 v10, v5, s2
	v_ashrrev_i32_e32 v5, 31, v4
	v_mul_lo_u32 v6, s16, v8
	v_mad_u64_u32 v[4:5], s[0:1], s16, v7, v[4:5]
	v_mul_lo_u32 v7, s17, v7
	v_add3_u32 v3, v10, v3, v9
	v_mad_u64_u32 v[2:3], s[0:1], v4, s18, v[2:3]
	v_add3_u32 v5, v7, v5, v6
	v_mul_lo_u32 v5, v5, s18
	v_mul_lo_u32 v4, v4, s19
	s_mul_i32 s0, s2, s13
	s_mul_hi_u32 s1, s2, s12
	s_mul_i32 s4, s4, s12
	s_add_i32 s0, s1, s0
	v_add3_u32 v3, v5, v3, v4
	s_add_i32 s0, s0, s4
	v_mov_b32_e32 v4, s27
	v_add_co_u32_e32 v0, vcc, s26, v0
	s_mul_i32 s4, s2, s12
	v_addc_co_u32_e32 v1, vcc, v4, v1, vcc
	s_mov_b64 s[2:3], 0
	v_mov_b32_e32 v4, s9
	v_mov_b32_e32 v5, s0
	;; [unrolled: 1-line block ×3, first 2 shown]
.LBB4_30:                               ; =>This Inner Loop Header: Depth=1
	v_add_co_u32_e32 v7, vcc, s8, v2
	v_addc_co_u32_e32 v8, vcc, v4, v3, vcc
	global_load_ubyte v9, v[7:8], off
	s_add_u32 s2, s2, 1
	s_addc_u32 s3, s3, 0
	v_add_co_u32_e32 v2, vcc, s4, v2
	v_mov_b32_e32 v8, s3
	v_addc_co_u32_e32 v3, vcc, v3, v5, vcc
	v_mov_b32_e32 v7, s2
	v_cmp_gt_u64_e32 vcc, s[10:11], v[7:8]
	s_and_b64 vcc, exec, vcc
	s_waitcnt vmcnt(0)
	global_store_byte v[0:1], v9, off
	v_add_co_u32_e64 v0, s[0:1], s6, v0
	v_addc_co_u32_e64 v1, s[0:1], v1, v6, s[0:1]
	s_cbranch_vccnz .LBB4_30
.LBB4_31:
	s_endpgm
	.section	.rodata,"a",@progbits
	.p2align	6, 0x0
	.amdhsa_kernel _ZN2at6native12_GLOBAL__N_128upsample_nearest3d_out_frameIhXadL_ZNS0_37nearest_neighbor_compute_source_indexEfiiEEEEvPKT_mmmmmmmmPS3_fff
		.amdhsa_group_segment_fixed_size 0
		.amdhsa_private_segment_fixed_size 0
		.amdhsa_kernarg_size 352
		.amdhsa_user_sgpr_count 6
		.amdhsa_user_sgpr_private_segment_buffer 1
		.amdhsa_user_sgpr_dispatch_ptr 0
		.amdhsa_user_sgpr_queue_ptr 0
		.amdhsa_user_sgpr_kernarg_segment_ptr 1
		.amdhsa_user_sgpr_dispatch_id 0
		.amdhsa_user_sgpr_flat_scratch_init 0
		.amdhsa_user_sgpr_private_segment_size 0
		.amdhsa_uses_dynamic_stack 0
		.amdhsa_system_sgpr_private_segment_wavefront_offset 0
		.amdhsa_system_sgpr_workgroup_id_x 1
		.amdhsa_system_sgpr_workgroup_id_y 0
		.amdhsa_system_sgpr_workgroup_id_z 0
		.amdhsa_system_sgpr_workgroup_info 0
		.amdhsa_system_vgpr_workitem_id 0
		.amdhsa_next_free_vgpr 19
		.amdhsa_next_free_sgpr 41
		.amdhsa_reserve_vcc 1
		.amdhsa_reserve_flat_scratch 0
		.amdhsa_float_round_mode_32 0
		.amdhsa_float_round_mode_16_64 0
		.amdhsa_float_denorm_mode_32 3
		.amdhsa_float_denorm_mode_16_64 3
		.amdhsa_dx10_clamp 1
		.amdhsa_ieee_mode 1
		.amdhsa_fp16_overflow 0
		.amdhsa_exception_fp_ieee_invalid_op 0
		.amdhsa_exception_fp_denorm_src 0
		.amdhsa_exception_fp_ieee_div_zero 0
		.amdhsa_exception_fp_ieee_overflow 0
		.amdhsa_exception_fp_ieee_underflow 0
		.amdhsa_exception_fp_ieee_inexact 0
		.amdhsa_exception_int_div_zero 0
	.end_amdhsa_kernel
	.section	.text._ZN2at6native12_GLOBAL__N_128upsample_nearest3d_out_frameIhXadL_ZNS0_37nearest_neighbor_compute_source_indexEfiiEEEEvPKT_mmmmmmmmPS3_fff,"axG",@progbits,_ZN2at6native12_GLOBAL__N_128upsample_nearest3d_out_frameIhXadL_ZNS0_37nearest_neighbor_compute_source_indexEfiiEEEEvPKT_mmmmmmmmPS3_fff,comdat
.Lfunc_end4:
	.size	_ZN2at6native12_GLOBAL__N_128upsample_nearest3d_out_frameIhXadL_ZNS0_37nearest_neighbor_compute_source_indexEfiiEEEEvPKT_mmmmmmmmPS3_fff, .Lfunc_end4-_ZN2at6native12_GLOBAL__N_128upsample_nearest3d_out_frameIhXadL_ZNS0_37nearest_neighbor_compute_source_indexEfiiEEEEvPKT_mmmmmmmmPS3_fff
                                        ; -- End function
	.set _ZN2at6native12_GLOBAL__N_128upsample_nearest3d_out_frameIhXadL_ZNS0_37nearest_neighbor_compute_source_indexEfiiEEEEvPKT_mmmmmmmmPS3_fff.num_vgpr, 19
	.set _ZN2at6native12_GLOBAL__N_128upsample_nearest3d_out_frameIhXadL_ZNS0_37nearest_neighbor_compute_source_indexEfiiEEEEvPKT_mmmmmmmmPS3_fff.num_agpr, 0
	.set _ZN2at6native12_GLOBAL__N_128upsample_nearest3d_out_frameIhXadL_ZNS0_37nearest_neighbor_compute_source_indexEfiiEEEEvPKT_mmmmmmmmPS3_fff.numbered_sgpr, 41
	.set _ZN2at6native12_GLOBAL__N_128upsample_nearest3d_out_frameIhXadL_ZNS0_37nearest_neighbor_compute_source_indexEfiiEEEEvPKT_mmmmmmmmPS3_fff.num_named_barrier, 0
	.set _ZN2at6native12_GLOBAL__N_128upsample_nearest3d_out_frameIhXadL_ZNS0_37nearest_neighbor_compute_source_indexEfiiEEEEvPKT_mmmmmmmmPS3_fff.private_seg_size, 0
	.set _ZN2at6native12_GLOBAL__N_128upsample_nearest3d_out_frameIhXadL_ZNS0_37nearest_neighbor_compute_source_indexEfiiEEEEvPKT_mmmmmmmmPS3_fff.uses_vcc, 1
	.set _ZN2at6native12_GLOBAL__N_128upsample_nearest3d_out_frameIhXadL_ZNS0_37nearest_neighbor_compute_source_indexEfiiEEEEvPKT_mmmmmmmmPS3_fff.uses_flat_scratch, 0
	.set _ZN2at6native12_GLOBAL__N_128upsample_nearest3d_out_frameIhXadL_ZNS0_37nearest_neighbor_compute_source_indexEfiiEEEEvPKT_mmmmmmmmPS3_fff.has_dyn_sized_stack, 0
	.set _ZN2at6native12_GLOBAL__N_128upsample_nearest3d_out_frameIhXadL_ZNS0_37nearest_neighbor_compute_source_indexEfiiEEEEvPKT_mmmmmmmmPS3_fff.has_recursion, 0
	.set _ZN2at6native12_GLOBAL__N_128upsample_nearest3d_out_frameIhXadL_ZNS0_37nearest_neighbor_compute_source_indexEfiiEEEEvPKT_mmmmmmmmPS3_fff.has_indirect_call, 0
	.section	.AMDGPU.csdata,"",@progbits
; Kernel info:
; codeLenInByte = 5256
; TotalNumSgprs: 45
; NumVgprs: 19
; ScratchSize: 0
; MemoryBound: 0
; FloatMode: 240
; IeeeMode: 1
; LDSByteSize: 0 bytes/workgroup (compile time only)
; SGPRBlocks: 5
; VGPRBlocks: 4
; NumSGPRsForWavesPerEU: 45
; NumVGPRsForWavesPerEU: 19
; Occupancy: 10
; WaveLimiterHint : 0
; COMPUTE_PGM_RSRC2:SCRATCH_EN: 0
; COMPUTE_PGM_RSRC2:USER_SGPR: 6
; COMPUTE_PGM_RSRC2:TRAP_HANDLER: 0
; COMPUTE_PGM_RSRC2:TGID_X_EN: 1
; COMPUTE_PGM_RSRC2:TGID_Y_EN: 0
; COMPUTE_PGM_RSRC2:TGID_Z_EN: 0
; COMPUTE_PGM_RSRC2:TIDIG_COMP_CNT: 0
	.section	.text._ZN2at6native12_GLOBAL__N_128upsample_nearest3d_out_frameIdXadL_ZNS0_43nearest_neighbor_exact_compute_source_indexEfiiEEEEvPKT_mmmmmmmmPS3_fff,"axG",@progbits,_ZN2at6native12_GLOBAL__N_128upsample_nearest3d_out_frameIdXadL_ZNS0_43nearest_neighbor_exact_compute_source_indexEfiiEEEEvPKT_mmmmmmmmPS3_fff,comdat
	.globl	_ZN2at6native12_GLOBAL__N_128upsample_nearest3d_out_frameIdXadL_ZNS0_43nearest_neighbor_exact_compute_source_indexEfiiEEEEvPKT_mmmmmmmmPS3_fff ; -- Begin function _ZN2at6native12_GLOBAL__N_128upsample_nearest3d_out_frameIdXadL_ZNS0_43nearest_neighbor_exact_compute_source_indexEfiiEEEEvPKT_mmmmmmmmPS3_fff
	.p2align	8
	.type	_ZN2at6native12_GLOBAL__N_128upsample_nearest3d_out_frameIdXadL_ZNS0_43nearest_neighbor_exact_compute_source_indexEfiiEEEEvPKT_mmmmmmmmPS3_fff,@function
_ZN2at6native12_GLOBAL__N_128upsample_nearest3d_out_frameIdXadL_ZNS0_43nearest_neighbor_exact_compute_source_indexEfiiEEEEvPKT_mmmmmmmmPS3_fff: ; @_ZN2at6native12_GLOBAL__N_128upsample_nearest3d_out_frameIdXadL_ZNS0_43nearest_neighbor_exact_compute_source_indexEfiiEEEEvPKT_mmmmmmmmPS3_fff
; %bb.0:
	s_load_dword s0, s[4:5], 0x6c
	s_load_dwordx4 s[24:27], s[4:5], 0x40
	s_load_dwordx16 s[8:23], s[4:5], 0x0
	v_mov_b32_e32 v2, 0
	v_mov_b32_e32 v1, v2
	s_waitcnt lgkmcnt(0)
	s_and_b32 s0, s0, 0xffff
	v_mov_b32_e32 v3, s6
	v_mad_u64_u32 v[0:1], s[0:1], s0, v3, v[0:1]
	s_mul_i32 s0, s22, s21
	s_mul_hi_u32 s1, s22, s20
	s_add_i32 s1, s1, s0
	s_mul_i32 s0, s23, s20
	s_add_i32 s1, s1, s0
	s_mul_i32 s0, s22, s20
	s_mul_i32 s2, s0, s13
	s_mul_hi_u32 s3, s0, s12
	s_add_i32 s2, s3, s2
	s_mul_i32 s3, s1, s12
	s_mul_i32 s6, s0, s12
	s_add_i32 s2, s2, s3
	s_mul_i32 s3, s6, s25
	s_mul_hi_u32 s7, s6, s24
	s_mul_i32 s2, s2, s24
	s_add_i32 s3, s7, s3
	s_add_i32 s3, s3, s2
	s_mul_i32 s2, s6, s24
	v_cmp_gt_u64_e32 vcc, s[2:3], v[0:1]
	s_cmp_lg_u64 s[10:11], 0
	s_cselect_b64 s[2:3], -1, 0
	s_and_b64 s[2:3], vcc, s[2:3]
	s_and_saveexec_b64 s[6:7], s[2:3]
	s_cbranch_execz .LBB5_31
; %bb.1:
	s_mul_i32 s2, s0, s25
	s_mul_hi_u32 s3, s0, s24
	s_add_i32 s2, s3, s2
	s_mul_i32 s1, s1, s24
	s_add_i32 s1, s2, s1
	v_or_b32_e32 v3, s1, v1
	v_cmp_ne_u64_e32 vcc, 0, v[2:3]
	s_mul_i32 s30, s0, s24
                                        ; implicit-def: $vgpr4_vgpr5
	s_and_saveexec_b64 s[2:3], vcc
	s_xor_b64 s[2:3], exec, s[2:3]
	s_cbranch_execz .LBB5_3
; %bb.2:
	s_ashr_i32 s6, s1, 31
	s_add_u32 s0, s30, s6
	s_mov_b32 s7, s6
	s_addc_u32 s1, s1, s6
	s_xor_b64 s[28:29], s[0:1], s[6:7]
	v_cvt_f32_u32_e32 v2, s28
	v_cvt_f32_u32_e32 v3, s29
	s_sub_u32 s7, 0, s28
	s_subb_u32 s31, 0, s29
	v_ashrrev_i32_e32 v6, 31, v1
	v_madmk_f32 v2, v3, 0x4f800000, v2
	v_rcp_f32_e32 v2, v2
	v_mul_f32_e32 v2, 0x5f7ffffc, v2
	v_mul_f32_e32 v3, 0x2f800000, v2
	v_trunc_f32_e32 v3, v3
	v_madmk_f32 v2, v3, 0xcf800000, v2
	v_cvt_u32_f32_e32 v3, v3
	v_cvt_u32_f32_e32 v2, v2
	v_readfirstlane_b32 s33, v3
	v_readfirstlane_b32 s0, v2
	s_mul_i32 s1, s7, s33
	s_mul_hi_u32 s35, s7, s0
	s_mul_i32 s34, s31, s0
	s_add_i32 s1, s35, s1
	s_add_i32 s1, s1, s34
	s_mul_i32 s36, s7, s0
	s_mul_i32 s35, s0, s1
	s_mul_hi_u32 s37, s0, s36
	s_mul_hi_u32 s34, s0, s1
	s_add_u32 s35, s37, s35
	s_addc_u32 s34, 0, s34
	s_mul_hi_u32 s38, s33, s36
	s_mul_i32 s36, s33, s36
	s_add_u32 s35, s35, s36
	s_mul_hi_u32 s37, s33, s1
	s_addc_u32 s34, s34, s38
	s_addc_u32 s35, s37, 0
	s_mul_i32 s1, s33, s1
	s_add_u32 s1, s34, s1
	s_addc_u32 s34, 0, s35
	s_add_u32 s35, s0, s1
	s_cselect_b64 s[0:1], -1, 0
	s_cmp_lg_u64 s[0:1], 0
	s_addc_u32 s33, s33, s34
	s_mul_i32 s0, s7, s33
	s_mul_hi_u32 s1, s7, s35
	s_add_i32 s0, s1, s0
	s_mul_i32 s31, s31, s35
	s_add_i32 s0, s0, s31
	s_mul_i32 s7, s7, s35
	s_mul_hi_u32 s31, s33, s7
	s_mul_i32 s34, s33, s7
	s_mul_i32 s37, s35, s0
	s_mul_hi_u32 s7, s35, s7
	s_mul_hi_u32 s36, s35, s0
	s_add_u32 s7, s7, s37
	s_addc_u32 s36, 0, s36
	s_add_u32 s7, s7, s34
	s_mul_hi_u32 s1, s33, s0
	s_addc_u32 s7, s36, s31
	s_addc_u32 s1, s1, 0
	s_mul_i32 s0, s33, s0
	s_add_u32 s0, s7, s0
	s_addc_u32 s7, 0, s1
	s_add_u32 s31, s35, s0
	s_cselect_b64 s[0:1], -1, 0
	s_cmp_lg_u64 s[0:1], 0
	v_add_co_u32_e32 v2, vcc, v0, v6
	s_addc_u32 s7, s33, s7
	v_xor_b32_e32 v7, v2, v6
	v_mad_u64_u32 v[2:3], s[0:1], v7, s7, 0
	v_mul_hi_u32 v5, v7, s31
	v_addc_co_u32_e32 v4, vcc, v1, v6, vcc
	v_xor_b32_e32 v8, v4, v6
	v_add_co_u32_e32 v9, vcc, v5, v2
	v_addc_co_u32_e32 v10, vcc, 0, v3, vcc
	v_mad_u64_u32 v[2:3], s[0:1], v8, s31, 0
	v_mad_u64_u32 v[4:5], s[0:1], v8, s7, 0
	v_add_co_u32_e32 v2, vcc, v9, v2
	v_addc_co_u32_e32 v2, vcc, v10, v3, vcc
	v_addc_co_u32_e32 v3, vcc, 0, v5, vcc
	v_add_co_u32_e32 v4, vcc, v2, v4
	v_addc_co_u32_e32 v5, vcc, 0, v3, vcc
	v_mul_lo_u32 v9, s29, v4
	v_mul_lo_u32 v10, s28, v5
	v_mad_u64_u32 v[2:3], s[0:1], s28, v4, 0
	v_add3_u32 v3, v3, v10, v9
	v_sub_u32_e32 v9, v8, v3
	v_mov_b32_e32 v10, s29
	v_sub_co_u32_e32 v2, vcc, v7, v2
	v_subb_co_u32_e64 v7, s[0:1], v9, v10, vcc
	v_subrev_co_u32_e64 v9, s[0:1], s28, v2
	v_subbrev_co_u32_e64 v7, s[0:1], 0, v7, s[0:1]
	v_cmp_le_u32_e64 s[0:1], s29, v7
	v_cndmask_b32_e64 v10, 0, -1, s[0:1]
	v_cmp_le_u32_e64 s[0:1], s28, v9
	v_cndmask_b32_e64 v9, 0, -1, s[0:1]
	v_cmp_eq_u32_e64 s[0:1], s29, v7
	v_cndmask_b32_e64 v7, v10, v9, s[0:1]
	v_add_co_u32_e64 v9, s[0:1], 2, v4
	v_subb_co_u32_e32 v3, vcc, v8, v3, vcc
	v_addc_co_u32_e64 v10, s[0:1], 0, v5, s[0:1]
	v_cmp_le_u32_e32 vcc, s29, v3
	v_add_co_u32_e64 v11, s[0:1], 1, v4
	v_cndmask_b32_e64 v8, 0, -1, vcc
	v_cmp_le_u32_e32 vcc, s28, v2
	v_addc_co_u32_e64 v12, s[0:1], 0, v5, s[0:1]
	v_cndmask_b32_e64 v2, 0, -1, vcc
	v_cmp_eq_u32_e32 vcc, s29, v3
	v_cmp_ne_u32_e64 s[0:1], 0, v7
	v_cndmask_b32_e32 v2, v8, v2, vcc
	v_cndmask_b32_e64 v7, v12, v10, s[0:1]
	v_cmp_ne_u32_e32 vcc, 0, v2
	v_cndmask_b32_e64 v3, v11, v9, s[0:1]
	v_cndmask_b32_e32 v2, v5, v7, vcc
	v_cndmask_b32_e32 v3, v4, v3, vcc
	v_xor_b32_e32 v5, s6, v6
	v_xor_b32_e32 v3, v3, v5
	;; [unrolled: 1-line block ×3, first 2 shown]
	v_sub_co_u32_e32 v4, vcc, v3, v5
	v_subb_co_u32_e32 v5, vcc, v2, v5, vcc
.LBB5_3:
	s_andn2_saveexec_b64 s[0:1], s[2:3]
	s_cbranch_execz .LBB5_5
; %bb.4:
	v_cvt_f32_u32_e32 v2, s30
	s_sub_i32 s2, 0, s30
	v_rcp_iflag_f32_e32 v2, v2
	v_mul_f32_e32 v2, 0x4f7ffffe, v2
	v_cvt_u32_f32_e32 v2, v2
	v_mul_lo_u32 v3, s2, v2
	v_mul_hi_u32 v3, v2, v3
	v_add_u32_e32 v2, v2, v3
	v_mul_hi_u32 v2, v0, v2
	v_mul_lo_u32 v3, v2, s30
	v_add_u32_e32 v4, 1, v2
	v_sub_u32_e32 v3, v0, v3
	v_subrev_u32_e32 v5, s30, v3
	v_cmp_le_u32_e32 vcc, s30, v3
	v_cndmask_b32_e32 v3, v3, v5, vcc
	v_cndmask_b32_e32 v2, v2, v4, vcc
	v_add_u32_e32 v4, 1, v2
	v_cmp_le_u32_e32 vcc, s30, v3
	v_cndmask_b32_e32 v4, v2, v4, vcc
	v_mov_b32_e32 v5, 0
.LBB5_5:
	s_or_b64 exec, exec, s[0:1]
	v_or_b32_e32 v3, s13, v5
	v_mov_b32_e32 v2, 0
	v_cmp_ne_u64_e32 vcc, 0, v[2:3]
                                        ; implicit-def: $vgpr2_vgpr3
	s_and_saveexec_b64 s[0:1], vcc
	s_xor_b64 s[2:3], exec, s[0:1]
	s_cbranch_execz .LBB5_7
; %bb.6:
	v_cvt_f32_u32_e32 v2, s12
	v_cvt_f32_u32_e32 v3, s13
	s_sub_u32 s6, 0, s12
	s_subb_u32 s7, 0, s13
	v_madmk_f32 v2, v3, 0x4f800000, v2
	v_rcp_f32_e32 v2, v2
	v_mul_f32_e32 v2, 0x5f7ffffc, v2
	v_mul_f32_e32 v3, 0x2f800000, v2
	v_trunc_f32_e32 v3, v3
	v_madmk_f32 v2, v3, 0xcf800000, v2
	v_cvt_u32_f32_e32 v3, v3
	v_cvt_u32_f32_e32 v2, v2
	v_readfirstlane_b32 s28, v3
	v_readfirstlane_b32 s0, v2
	s_mul_i32 s1, s6, s28
	s_mul_hi_u32 s30, s6, s0
	s_mul_i32 s29, s7, s0
	s_add_i32 s1, s30, s1
	s_mul_i32 s31, s6, s0
	s_add_i32 s1, s1, s29
	s_mul_i32 s30, s0, s1
	s_mul_hi_u32 s33, s0, s31
	s_mul_hi_u32 s29, s0, s1
	s_add_u32 s30, s33, s30
	s_addc_u32 s29, 0, s29
	s_mul_hi_u32 s34, s28, s31
	s_mul_i32 s31, s28, s31
	s_add_u32 s30, s30, s31
	s_mul_hi_u32 s33, s28, s1
	s_addc_u32 s29, s29, s34
	s_addc_u32 s30, s33, 0
	s_mul_i32 s1, s28, s1
	s_add_u32 s1, s29, s1
	s_addc_u32 s29, 0, s30
	s_add_u32 s30, s0, s1
	s_cselect_b64 s[0:1], -1, 0
	s_cmp_lg_u64 s[0:1], 0
	s_addc_u32 s28, s28, s29
	s_mul_i32 s0, s6, s28
	s_mul_hi_u32 s1, s6, s30
	s_add_i32 s0, s1, s0
	s_mul_i32 s7, s7, s30
	s_add_i32 s0, s0, s7
	s_mul_i32 s6, s6, s30
	s_mul_hi_u32 s7, s28, s6
	s_mul_i32 s29, s28, s6
	s_mul_i32 s33, s30, s0
	s_mul_hi_u32 s6, s30, s6
	s_mul_hi_u32 s31, s30, s0
	s_add_u32 s6, s6, s33
	s_addc_u32 s31, 0, s31
	s_add_u32 s6, s6, s29
	s_mul_hi_u32 s1, s28, s0
	s_addc_u32 s6, s31, s7
	s_addc_u32 s1, s1, 0
	s_mul_i32 s0, s28, s0
	s_add_u32 s0, s6, s0
	s_addc_u32 s6, 0, s1
	s_add_u32 s7, s30, s0
	s_cselect_b64 s[0:1], -1, 0
	s_cmp_lg_u64 s[0:1], 0
	s_addc_u32 s6, s28, s6
	v_mad_u64_u32 v[2:3], s[0:1], v4, s6, 0
	v_mul_hi_u32 v6, v4, s7
	v_add_co_u32_e32 v8, vcc, v6, v2
	v_addc_co_u32_e32 v9, vcc, 0, v3, vcc
	v_mad_u64_u32 v[2:3], s[0:1], v5, s7, 0
	v_mad_u64_u32 v[6:7], s[0:1], v5, s6, 0
	v_add_co_u32_e32 v2, vcc, v8, v2
	v_addc_co_u32_e32 v2, vcc, v9, v3, vcc
	v_addc_co_u32_e32 v3, vcc, 0, v7, vcc
	v_add_co_u32_e32 v2, vcc, v2, v6
	v_addc_co_u32_e32 v3, vcc, 0, v3, vcc
	v_mul_lo_u32 v6, s13, v2
	v_mul_lo_u32 v7, s12, v3
	v_mad_u64_u32 v[2:3], s[0:1], s12, v2, 0
	v_add3_u32 v3, v3, v7, v6
	v_sub_u32_e32 v6, v5, v3
	v_mov_b32_e32 v7, s13
	v_sub_co_u32_e32 v2, vcc, v4, v2
	v_subb_co_u32_e64 v4, s[0:1], v6, v7, vcc
	v_subrev_co_u32_e64 v6, s[0:1], s12, v2
	v_subbrev_co_u32_e64 v4, s[0:1], 0, v4, s[0:1]
	v_cmp_le_u32_e64 s[0:1], s13, v4
	v_subb_co_u32_e32 v3, vcc, v5, v3, vcc
	v_cndmask_b32_e64 v7, 0, -1, s[0:1]
	v_cmp_le_u32_e64 s[0:1], s12, v6
	v_cmp_le_u32_e32 vcc, s13, v3
	v_cndmask_b32_e64 v8, 0, -1, s[0:1]
	v_cmp_eq_u32_e64 s[0:1], s13, v4
	v_cndmask_b32_e64 v5, 0, -1, vcc
	v_cmp_le_u32_e32 vcc, s12, v2
	v_cndmask_b32_e64 v4, v7, v8, s[0:1]
	v_cndmask_b32_e64 v8, 0, -1, vcc
	v_cmp_eq_u32_e32 vcc, s13, v3
	v_subrev_co_u32_e64 v7, s[0:1], s12, v6
	v_cndmask_b32_e32 v3, v5, v8, vcc
	v_cmp_ne_u32_e32 vcc, 0, v4
	v_cndmask_b32_e32 v4, v6, v7, vcc
	v_cmp_ne_u32_e32 vcc, 0, v3
	v_cndmask_b32_e32 v2, v2, v4, vcc
                                        ; implicit-def: $vgpr4_vgpr5
.LBB5_7:
	s_andn2_saveexec_b64 s[0:1], s[2:3]
	s_cbranch_execz .LBB5_9
; %bb.8:
	v_cvt_f32_u32_e32 v2, s12
	s_sub_i32 s2, 0, s12
	v_rcp_iflag_f32_e32 v2, v2
	v_mul_f32_e32 v2, 0x4f7ffffe, v2
	v_cvt_u32_f32_e32 v2, v2
	v_mul_lo_u32 v3, s2, v2
	v_mul_hi_u32 v3, v2, v3
	v_add_u32_e32 v2, v2, v3
	v_mul_hi_u32 v2, v4, v2
	v_mul_lo_u32 v2, v2, s12
	v_sub_u32_e32 v2, v4, v2
	v_subrev_u32_e32 v3, s12, v2
	v_cmp_le_u32_e32 vcc, s12, v2
	v_cndmask_b32_e32 v2, v2, v3, vcc
	v_subrev_u32_e32 v3, s12, v2
	v_cmp_le_u32_e32 vcc, s12, v2
	v_cndmask_b32_e32 v2, v2, v3, vcc
.LBB5_9:
	s_or_b64 exec, exec, s[0:1]
	v_cvt_f32_u32_e32 v12, s24
	v_cvt_f32_u32_e32 v13, s25
	v_or_b32_e32 v4, s25, v1
	v_mov_b32_e32 v3, 0
	v_cmp_ne_u64_e32 vcc, 0, v[3:4]
                                        ; implicit-def: $vgpr3_vgpr4
	s_and_saveexec_b64 s[0:1], vcc
	s_xor_b64 s[2:3], exec, s[0:1]
	s_cbranch_execz .LBB5_11
; %bb.10:
	v_madmk_f32 v3, v13, 0x4f800000, v12
	v_rcp_f32_e32 v3, v3
	s_sub_u32 s6, 0, s24
	s_subb_u32 s7, 0, s25
	v_mul_f32_e32 v3, 0x5f7ffffc, v3
	v_mul_f32_e32 v4, 0x2f800000, v3
	v_trunc_f32_e32 v4, v4
	v_madmk_f32 v3, v4, 0xcf800000, v3
	v_cvt_u32_f32_e32 v4, v4
	v_cvt_u32_f32_e32 v3, v3
	v_readfirstlane_b32 s28, v4
	v_readfirstlane_b32 s0, v3
	s_mul_i32 s1, s6, s28
	s_mul_hi_u32 s30, s6, s0
	s_mul_i32 s29, s7, s0
	s_add_i32 s1, s30, s1
	s_add_i32 s1, s1, s29
	s_mul_i32 s31, s6, s0
	s_mul_i32 s30, s0, s1
	s_mul_hi_u32 s33, s0, s31
	s_mul_hi_u32 s29, s0, s1
	s_add_u32 s30, s33, s30
	s_addc_u32 s29, 0, s29
	s_mul_hi_u32 s34, s28, s31
	s_mul_i32 s31, s28, s31
	s_add_u32 s30, s30, s31
	s_mul_hi_u32 s33, s28, s1
	s_addc_u32 s29, s29, s34
	s_addc_u32 s30, s33, 0
	s_mul_i32 s1, s28, s1
	s_add_u32 s1, s29, s1
	s_addc_u32 s29, 0, s30
	s_add_u32 s30, s0, s1
	s_cselect_b64 s[0:1], -1, 0
	s_cmp_lg_u64 s[0:1], 0
	s_addc_u32 s28, s28, s29
	s_mul_i32 s0, s6, s28
	s_mul_hi_u32 s1, s6, s30
	s_add_i32 s0, s1, s0
	s_mul_i32 s7, s7, s30
	s_add_i32 s0, s0, s7
	s_mul_i32 s6, s6, s30
	s_mul_hi_u32 s7, s28, s6
	s_mul_i32 s29, s28, s6
	s_mul_i32 s33, s30, s0
	s_mul_hi_u32 s6, s30, s6
	s_mul_hi_u32 s31, s30, s0
	s_add_u32 s6, s6, s33
	s_addc_u32 s31, 0, s31
	s_add_u32 s6, s6, s29
	s_mul_hi_u32 s1, s28, s0
	s_addc_u32 s6, s31, s7
	s_addc_u32 s1, s1, 0
	s_mul_i32 s0, s28, s0
	s_add_u32 s0, s6, s0
	s_addc_u32 s6, 0, s1
	s_add_u32 s7, s30, s0
	s_cselect_b64 s[0:1], -1, 0
	s_cmp_lg_u64 s[0:1], 0
	s_addc_u32 s6, s28, s6
	v_mad_u64_u32 v[3:4], s[0:1], v0, s6, 0
	v_mul_hi_u32 v5, v0, s7
	v_add_co_u32_e32 v7, vcc, v5, v3
	v_addc_co_u32_e32 v8, vcc, 0, v4, vcc
	v_mad_u64_u32 v[3:4], s[0:1], v1, s7, 0
	v_mad_u64_u32 v[5:6], s[0:1], v1, s6, 0
	v_add_co_u32_e32 v3, vcc, v7, v3
	v_addc_co_u32_e32 v3, vcc, v8, v4, vcc
	v_addc_co_u32_e32 v4, vcc, 0, v6, vcc
	v_add_co_u32_e32 v5, vcc, v3, v5
	v_addc_co_u32_e32 v6, vcc, 0, v4, vcc
	v_mul_lo_u32 v7, s25, v5
	v_mul_lo_u32 v8, s24, v6
	v_mad_u64_u32 v[3:4], s[0:1], s24, v5, 0
	v_add3_u32 v4, v4, v8, v7
	v_sub_u32_e32 v7, v1, v4
	v_mov_b32_e32 v8, s25
	v_sub_co_u32_e32 v3, vcc, v0, v3
	v_subb_co_u32_e64 v7, s[0:1], v7, v8, vcc
	v_subrev_co_u32_e64 v8, s[0:1], s24, v3
	v_subbrev_co_u32_e64 v7, s[0:1], 0, v7, s[0:1]
	v_cmp_le_u32_e64 s[0:1], s25, v7
	v_cndmask_b32_e64 v9, 0, -1, s[0:1]
	v_cmp_le_u32_e64 s[0:1], s24, v8
	v_cndmask_b32_e64 v8, 0, -1, s[0:1]
	v_cmp_eq_u32_e64 s[0:1], s25, v7
	v_cndmask_b32_e64 v7, v9, v8, s[0:1]
	v_add_co_u32_e64 v8, s[0:1], 2, v5
	v_addc_co_u32_e64 v9, s[0:1], 0, v6, s[0:1]
	v_add_co_u32_e64 v10, s[0:1], 1, v5
	v_addc_co_u32_e64 v11, s[0:1], 0, v6, s[0:1]
	v_subb_co_u32_e32 v4, vcc, v1, v4, vcc
	v_cmp_ne_u32_e64 s[0:1], 0, v7
	v_cmp_le_u32_e32 vcc, s25, v4
	v_cndmask_b32_e64 v7, v11, v9, s[0:1]
	v_cndmask_b32_e64 v9, 0, -1, vcc
	v_cmp_le_u32_e32 vcc, s24, v3
	v_cndmask_b32_e64 v3, 0, -1, vcc
	v_cmp_eq_u32_e32 vcc, s25, v4
	v_cndmask_b32_e32 v3, v9, v3, vcc
	v_cmp_ne_u32_e32 vcc, 0, v3
	v_cndmask_b32_e64 v3, v10, v8, s[0:1]
	v_cndmask_b32_e32 v4, v6, v7, vcc
	v_cndmask_b32_e32 v3, v5, v3, vcc
.LBB5_11:
	s_or_saveexec_b64 s[0:1], s[2:3]
	v_cvt_f32_u32_e32 v14, s24
	s_xor_b64 exec, exec, s[0:1]
	s_cbranch_execz .LBB5_13
; %bb.12:
	v_rcp_iflag_f32_e32 v3, v14
	s_sub_i32 s2, 0, s24
	v_mul_f32_e32 v3, 0x4f7ffffe, v3
	v_cvt_u32_f32_e32 v3, v3
	v_mul_lo_u32 v4, s2, v3
	v_mul_hi_u32 v4, v3, v4
	v_add_u32_e32 v3, v3, v4
	v_mul_hi_u32 v3, v0, v3
	v_mul_lo_u32 v4, v3, s24
	v_add_u32_e32 v5, 1, v3
	v_sub_u32_e32 v4, v0, v4
	v_subrev_u32_e32 v6, s24, v4
	v_cmp_le_u32_e32 vcc, s24, v4
	v_cndmask_b32_e32 v4, v4, v6, vcc
	v_cndmask_b32_e32 v3, v3, v5, vcc
	v_add_u32_e32 v5, 1, v3
	v_cmp_le_u32_e32 vcc, s24, v4
	v_cndmask_b32_e32 v3, v3, v5, vcc
	v_mov_b32_e32 v4, 0
.LBB5_13:
	s_or_b64 exec, exec, s[0:1]
	v_cvt_f32_u32_e32 v9, s22
	v_cvt_f32_u32_e32 v10, s23
	v_or_b32_e32 v6, s23, v1
	v_mov_b32_e32 v5, 0
	v_cmp_ne_u64_e32 vcc, 0, v[5:6]
                                        ; implicit-def: $vgpr5_vgpr6
	s_and_saveexec_b64 s[0:1], vcc
	s_xor_b64 s[2:3], exec, s[0:1]
	s_cbranch_execz .LBB5_15
; %bb.14:
	v_madmk_f32 v5, v10, 0x4f800000, v9
	v_rcp_f32_e32 v5, v5
	s_sub_u32 s6, 0, s22
	s_subb_u32 s7, 0, s23
	v_mul_f32_e32 v5, 0x5f7ffffc, v5
	v_mul_f32_e32 v6, 0x2f800000, v5
	v_trunc_f32_e32 v6, v6
	v_madmk_f32 v5, v6, 0xcf800000, v5
	v_cvt_u32_f32_e32 v6, v6
	v_cvt_u32_f32_e32 v5, v5
	v_readfirstlane_b32 s28, v6
	v_readfirstlane_b32 s0, v5
	s_mul_i32 s1, s6, s28
	s_mul_hi_u32 s30, s6, s0
	s_mul_i32 s29, s7, s0
	s_add_i32 s1, s30, s1
	s_add_i32 s1, s1, s29
	s_mul_i32 s31, s6, s0
	s_mul_i32 s30, s0, s1
	s_mul_hi_u32 s33, s0, s31
	s_mul_hi_u32 s29, s0, s1
	s_add_u32 s30, s33, s30
	s_addc_u32 s29, 0, s29
	s_mul_hi_u32 s34, s28, s31
	s_mul_i32 s31, s28, s31
	s_add_u32 s30, s30, s31
	s_mul_hi_u32 s33, s28, s1
	s_addc_u32 s29, s29, s34
	s_addc_u32 s30, s33, 0
	s_mul_i32 s1, s28, s1
	s_add_u32 s1, s29, s1
	s_addc_u32 s29, 0, s30
	s_add_u32 s30, s0, s1
	s_cselect_b64 s[0:1], -1, 0
	s_cmp_lg_u64 s[0:1], 0
	s_addc_u32 s28, s28, s29
	s_mul_i32 s0, s6, s28
	s_mul_hi_u32 s1, s6, s30
	s_add_i32 s0, s1, s0
	s_mul_i32 s7, s7, s30
	s_add_i32 s0, s0, s7
	s_mul_i32 s6, s6, s30
	s_mul_hi_u32 s7, s28, s6
	s_mul_i32 s29, s28, s6
	s_mul_i32 s33, s30, s0
	s_mul_hi_u32 s6, s30, s6
	s_mul_hi_u32 s31, s30, s0
	s_add_u32 s6, s6, s33
	s_addc_u32 s31, 0, s31
	s_add_u32 s6, s6, s29
	s_mul_hi_u32 s1, s28, s0
	s_addc_u32 s6, s31, s7
	s_addc_u32 s1, s1, 0
	s_mul_i32 s0, s28, s0
	s_add_u32 s0, s6, s0
	s_addc_u32 s6, 0, s1
	s_add_u32 s7, s30, s0
	s_cselect_b64 s[0:1], -1, 0
	s_cmp_lg_u64 s[0:1], 0
	s_addc_u32 s6, s28, s6
	v_mad_u64_u32 v[5:6], s[0:1], v0, s6, 0
	v_mul_hi_u32 v7, v0, s7
	v_add_co_u32_e32 v11, vcc, v7, v5
	v_addc_co_u32_e32 v15, vcc, 0, v6, vcc
	v_mad_u64_u32 v[5:6], s[0:1], v1, s7, 0
	v_mad_u64_u32 v[7:8], s[0:1], v1, s6, 0
	v_add_co_u32_e32 v5, vcc, v11, v5
	v_addc_co_u32_e32 v5, vcc, v15, v6, vcc
	v_addc_co_u32_e32 v6, vcc, 0, v8, vcc
	v_add_co_u32_e32 v7, vcc, v5, v7
	v_addc_co_u32_e32 v8, vcc, 0, v6, vcc
	v_mul_lo_u32 v11, s23, v7
	v_mul_lo_u32 v15, s22, v8
	v_mad_u64_u32 v[5:6], s[0:1], s22, v7, 0
	v_add3_u32 v6, v6, v15, v11
	v_sub_u32_e32 v11, v1, v6
	v_mov_b32_e32 v15, s23
	v_sub_co_u32_e32 v5, vcc, v0, v5
	v_subb_co_u32_e64 v11, s[0:1], v11, v15, vcc
	v_subrev_co_u32_e64 v15, s[0:1], s22, v5
	v_subbrev_co_u32_e64 v11, s[0:1], 0, v11, s[0:1]
	v_cmp_le_u32_e64 s[0:1], s23, v11
	v_cndmask_b32_e64 v16, 0, -1, s[0:1]
	v_cmp_le_u32_e64 s[0:1], s22, v15
	v_cndmask_b32_e64 v15, 0, -1, s[0:1]
	v_cmp_eq_u32_e64 s[0:1], s23, v11
	v_cndmask_b32_e64 v11, v16, v15, s[0:1]
	v_add_co_u32_e64 v15, s[0:1], 2, v7
	v_addc_co_u32_e64 v16, s[0:1], 0, v8, s[0:1]
	v_add_co_u32_e64 v17, s[0:1], 1, v7
	v_addc_co_u32_e64 v18, s[0:1], 0, v8, s[0:1]
	v_subb_co_u32_e32 v6, vcc, v1, v6, vcc
	v_cmp_ne_u32_e64 s[0:1], 0, v11
	v_cmp_le_u32_e32 vcc, s23, v6
	v_cndmask_b32_e64 v11, v18, v16, s[0:1]
	v_cndmask_b32_e64 v16, 0, -1, vcc
	v_cmp_le_u32_e32 vcc, s22, v5
	v_cndmask_b32_e64 v5, 0, -1, vcc
	v_cmp_eq_u32_e32 vcc, s23, v6
	v_cndmask_b32_e32 v5, v16, v5, vcc
	v_cmp_ne_u32_e32 vcc, 0, v5
	v_cndmask_b32_e64 v5, v17, v15, s[0:1]
	v_cndmask_b32_e32 v6, v8, v11, vcc
	v_cndmask_b32_e32 v5, v7, v5, vcc
.LBB5_15:
	s_or_saveexec_b64 s[0:1], s[2:3]
	v_cvt_f32_u32_e32 v11, s22
	s_xor_b64 exec, exec, s[0:1]
	s_cbranch_execz .LBB5_17
; %bb.16:
	v_rcp_iflag_f32_e32 v5, v11
	s_sub_i32 s2, 0, s22
	v_mul_f32_e32 v5, 0x4f7ffffe, v5
	v_cvt_u32_f32_e32 v5, v5
	v_mul_lo_u32 v6, s2, v5
	v_mul_hi_u32 v6, v5, v6
	v_add_u32_e32 v5, v5, v6
	v_mul_hi_u32 v5, v0, v5
	v_mul_lo_u32 v6, v5, s22
	v_add_u32_e32 v7, 1, v5
	v_sub_u32_e32 v6, v0, v6
	v_subrev_u32_e32 v8, s22, v6
	v_cmp_le_u32_e32 vcc, s22, v6
	v_cndmask_b32_e32 v6, v6, v8, vcc
	v_cndmask_b32_e32 v5, v5, v7, vcc
	v_add_u32_e32 v7, 1, v5
	v_cmp_le_u32_e32 vcc, s22, v6
	v_cndmask_b32_e32 v5, v5, v7, vcc
	v_mov_b32_e32 v6, 0
.LBB5_17:
	s_or_b64 exec, exec, s[0:1]
	v_or_b32_e32 v8, s25, v6
	v_mov_b32_e32 v7, 0
	v_cmp_ne_u64_e32 vcc, 0, v[7:8]
                                        ; implicit-def: $vgpr7_vgpr8
	s_and_saveexec_b64 s[0:1], vcc
	s_xor_b64 s[2:3], exec, s[0:1]
	s_cbranch_execz .LBB5_19
; %bb.18:
	v_madmk_f32 v7, v13, 0x4f800000, v12
	v_rcp_f32_e32 v7, v7
	s_sub_u32 s6, 0, s24
	s_subb_u32 s7, 0, s25
	v_mul_f32_e32 v7, 0x5f7ffffc, v7
	v_mul_f32_e32 v8, 0x2f800000, v7
	v_trunc_f32_e32 v8, v8
	v_madmk_f32 v7, v8, 0xcf800000, v7
	v_cvt_u32_f32_e32 v8, v8
	v_cvt_u32_f32_e32 v7, v7
	v_readfirstlane_b32 s28, v8
	v_readfirstlane_b32 s0, v7
	s_mul_i32 s1, s6, s28
	s_mul_hi_u32 s30, s6, s0
	s_mul_i32 s29, s7, s0
	s_add_i32 s1, s30, s1
	s_add_i32 s1, s1, s29
	s_mul_i32 s31, s6, s0
	s_mul_i32 s30, s0, s1
	s_mul_hi_u32 s33, s0, s31
	s_mul_hi_u32 s29, s0, s1
	s_add_u32 s30, s33, s30
	s_addc_u32 s29, 0, s29
	s_mul_hi_u32 s34, s28, s31
	s_mul_i32 s31, s28, s31
	s_add_u32 s30, s30, s31
	s_mul_hi_u32 s33, s28, s1
	s_addc_u32 s29, s29, s34
	s_addc_u32 s30, s33, 0
	s_mul_i32 s1, s28, s1
	s_add_u32 s1, s29, s1
	s_addc_u32 s29, 0, s30
	s_add_u32 s30, s0, s1
	s_cselect_b64 s[0:1], -1, 0
	s_cmp_lg_u64 s[0:1], 0
	s_addc_u32 s28, s28, s29
	s_mul_i32 s0, s6, s28
	s_mul_hi_u32 s1, s6, s30
	s_add_i32 s0, s1, s0
	s_mul_i32 s7, s7, s30
	s_add_i32 s0, s0, s7
	s_mul_i32 s6, s6, s30
	s_mul_hi_u32 s7, s28, s6
	s_mul_i32 s29, s28, s6
	s_mul_i32 s33, s30, s0
	s_mul_hi_u32 s6, s30, s6
	s_mul_hi_u32 s31, s30, s0
	s_add_u32 s6, s6, s33
	s_addc_u32 s31, 0, s31
	s_add_u32 s6, s6, s29
	s_mul_hi_u32 s1, s28, s0
	s_addc_u32 s6, s31, s7
	s_addc_u32 s1, s1, 0
	s_mul_i32 s0, s28, s0
	s_add_u32 s0, s6, s0
	s_addc_u32 s6, 0, s1
	s_add_u32 s7, s30, s0
	s_cselect_b64 s[0:1], -1, 0
	s_cmp_lg_u64 s[0:1], 0
	s_addc_u32 s6, s28, s6
	v_mad_u64_u32 v[7:8], s[0:1], v5, s6, 0
	v_mul_hi_u32 v12, v5, s7
	v_add_co_u32_e32 v14, vcc, v12, v7
	v_addc_co_u32_e32 v15, vcc, 0, v8, vcc
	v_mad_u64_u32 v[7:8], s[0:1], v6, s7, 0
	v_mad_u64_u32 v[12:13], s[0:1], v6, s6, 0
	v_add_co_u32_e32 v7, vcc, v14, v7
	v_addc_co_u32_e32 v7, vcc, v15, v8, vcc
	v_addc_co_u32_e32 v8, vcc, 0, v13, vcc
	v_add_co_u32_e32 v12, vcc, v7, v12
	v_addc_co_u32_e32 v13, vcc, 0, v8, vcc
	v_mul_lo_u32 v14, s25, v12
	v_mul_lo_u32 v15, s24, v13
	v_mad_u64_u32 v[7:8], s[0:1], s24, v12, 0
	v_add3_u32 v8, v8, v15, v14
	v_sub_u32_e32 v14, v6, v8
	v_mov_b32_e32 v15, s25
	v_sub_co_u32_e32 v5, vcc, v5, v7
	v_subb_co_u32_e64 v7, s[0:1], v14, v15, vcc
	v_subrev_co_u32_e64 v14, s[0:1], s24, v5
	v_subbrev_co_u32_e64 v7, s[0:1], 0, v7, s[0:1]
	v_cmp_le_u32_e64 s[0:1], s25, v7
	v_cndmask_b32_e64 v15, 0, -1, s[0:1]
	v_cmp_le_u32_e64 s[0:1], s24, v14
	v_cndmask_b32_e64 v14, 0, -1, s[0:1]
	v_cmp_eq_u32_e64 s[0:1], s25, v7
	v_cndmask_b32_e64 v7, v15, v14, s[0:1]
	v_add_co_u32_e64 v14, s[0:1], 2, v12
	v_subb_co_u32_e32 v6, vcc, v6, v8, vcc
	v_addc_co_u32_e64 v15, s[0:1], 0, v13, s[0:1]
	v_cmp_le_u32_e32 vcc, s25, v6
	v_add_co_u32_e64 v16, s[0:1], 1, v12
	v_cndmask_b32_e64 v8, 0, -1, vcc
	v_cmp_le_u32_e32 vcc, s24, v5
	v_addc_co_u32_e64 v17, s[0:1], 0, v13, s[0:1]
	v_cndmask_b32_e64 v5, 0, -1, vcc
	v_cmp_eq_u32_e32 vcc, s25, v6
	v_cmp_ne_u32_e64 s[0:1], 0, v7
	v_cndmask_b32_e32 v5, v8, v5, vcc
	v_cndmask_b32_e64 v7, v17, v15, s[0:1]
	v_cmp_ne_u32_e32 vcc, 0, v5
	v_cndmask_b32_e64 v5, v16, v14, s[0:1]
	v_cndmask_b32_e32 v8, v13, v7, vcc
	v_cndmask_b32_e32 v7, v12, v5, vcc
                                        ; implicit-def: $vgpr14
                                        ; implicit-def: $vgpr5_vgpr6
.LBB5_19:
	s_andn2_saveexec_b64 s[0:1], s[2:3]
	s_cbranch_execz .LBB5_21
; %bb.20:
	v_rcp_iflag_f32_e32 v6, v14
	s_sub_i32 s2, 0, s24
	v_mul_f32_e32 v6, 0x4f7ffffe, v6
	v_cvt_u32_f32_e32 v6, v6
	v_mul_lo_u32 v7, s2, v6
	v_mul_hi_u32 v7, v6, v7
	v_add_u32_e32 v6, v6, v7
	v_mul_hi_u32 v6, v5, v6
	v_mul_lo_u32 v7, v6, s24
	v_add_u32_e32 v8, 1, v6
	v_sub_u32_e32 v5, v5, v7
	v_subrev_u32_e32 v7, s24, v5
	v_cmp_le_u32_e32 vcc, s24, v5
	v_cndmask_b32_e32 v5, v5, v7, vcc
	v_cndmask_b32_e32 v6, v6, v8, vcc
	v_add_u32_e32 v7, 1, v6
	v_cmp_le_u32_e32 vcc, s24, v5
	v_cndmask_b32_e32 v7, v6, v7, vcc
	v_mov_b32_e32 v8, 0
.LBB5_21:
	s_or_b64 exec, exec, s[0:1]
	v_or_b32_e32 v6, s21, v8
	v_mov_b32_e32 v5, 0
	v_cmp_ne_u64_e32 vcc, 0, v[5:6]
                                        ; implicit-def: $vgpr5_vgpr6
	s_and_saveexec_b64 s[0:1], vcc
	s_xor_b64 s[2:3], exec, s[0:1]
	s_cbranch_execz .LBB5_23
; %bb.22:
	v_cvt_f32_u32_e32 v5, s20
	v_cvt_f32_u32_e32 v6, s21
	s_sub_u32 s6, 0, s20
	s_subb_u32 s7, 0, s21
	v_madmk_f32 v5, v6, 0x4f800000, v5
	v_rcp_f32_e32 v5, v5
	v_mul_f32_e32 v5, 0x5f7ffffc, v5
	v_mul_f32_e32 v6, 0x2f800000, v5
	v_trunc_f32_e32 v6, v6
	v_madmk_f32 v5, v6, 0xcf800000, v5
	v_cvt_u32_f32_e32 v6, v6
	v_cvt_u32_f32_e32 v5, v5
	v_readfirstlane_b32 s28, v6
	v_readfirstlane_b32 s0, v5
	s_mul_i32 s1, s6, s28
	s_mul_hi_u32 s30, s6, s0
	s_mul_i32 s29, s7, s0
	s_add_i32 s1, s30, s1
	s_mul_i32 s31, s6, s0
	s_add_i32 s1, s1, s29
	s_mul_i32 s30, s0, s1
	s_mul_hi_u32 s33, s0, s31
	s_mul_hi_u32 s29, s0, s1
	s_add_u32 s30, s33, s30
	s_addc_u32 s29, 0, s29
	s_mul_hi_u32 s34, s28, s31
	s_mul_i32 s31, s28, s31
	s_add_u32 s30, s30, s31
	s_mul_hi_u32 s33, s28, s1
	s_addc_u32 s29, s29, s34
	s_addc_u32 s30, s33, 0
	s_mul_i32 s1, s28, s1
	s_add_u32 s1, s29, s1
	s_addc_u32 s29, 0, s30
	s_add_u32 s30, s0, s1
	s_cselect_b64 s[0:1], -1, 0
	s_cmp_lg_u64 s[0:1], 0
	s_addc_u32 s28, s28, s29
	s_mul_i32 s0, s6, s28
	s_mul_hi_u32 s1, s6, s30
	s_add_i32 s0, s1, s0
	s_mul_i32 s7, s7, s30
	s_add_i32 s0, s0, s7
	s_mul_i32 s6, s6, s30
	s_mul_hi_u32 s7, s28, s6
	s_mul_i32 s29, s28, s6
	s_mul_i32 s33, s30, s0
	s_mul_hi_u32 s6, s30, s6
	s_mul_hi_u32 s31, s30, s0
	s_add_u32 s6, s6, s33
	s_addc_u32 s31, 0, s31
	s_add_u32 s6, s6, s29
	s_mul_hi_u32 s1, s28, s0
	s_addc_u32 s6, s31, s7
	s_addc_u32 s1, s1, 0
	s_mul_i32 s0, s28, s0
	s_add_u32 s0, s6, s0
	s_addc_u32 s6, 0, s1
	s_add_u32 s7, s30, s0
	s_cselect_b64 s[0:1], -1, 0
	s_cmp_lg_u64 s[0:1], 0
	s_addc_u32 s6, s28, s6
	v_mad_u64_u32 v[5:6], s[0:1], v7, s6, 0
	v_mul_hi_u32 v12, v7, s7
	v_add_co_u32_e32 v14, vcc, v12, v5
	v_addc_co_u32_e32 v15, vcc, 0, v6, vcc
	v_mad_u64_u32 v[5:6], s[0:1], v8, s7, 0
	v_mad_u64_u32 v[12:13], s[0:1], v8, s6, 0
	v_add_co_u32_e32 v5, vcc, v14, v5
	v_addc_co_u32_e32 v5, vcc, v15, v6, vcc
	v_addc_co_u32_e32 v6, vcc, 0, v13, vcc
	v_add_co_u32_e32 v5, vcc, v5, v12
	v_addc_co_u32_e32 v6, vcc, 0, v6, vcc
	v_mul_lo_u32 v12, s21, v5
	v_mul_lo_u32 v13, s20, v6
	v_mad_u64_u32 v[5:6], s[0:1], s20, v5, 0
	v_add3_u32 v6, v6, v13, v12
	v_sub_u32_e32 v12, v8, v6
	v_mov_b32_e32 v13, s21
	v_sub_co_u32_e32 v5, vcc, v7, v5
	v_subb_co_u32_e64 v7, s[0:1], v12, v13, vcc
	v_subrev_co_u32_e64 v12, s[0:1], s20, v5
	v_subbrev_co_u32_e64 v7, s[0:1], 0, v7, s[0:1]
	v_cmp_le_u32_e64 s[0:1], s21, v7
	v_subb_co_u32_e32 v6, vcc, v8, v6, vcc
	v_cndmask_b32_e64 v13, 0, -1, s[0:1]
	v_cmp_le_u32_e64 s[0:1], s20, v12
	v_cmp_le_u32_e32 vcc, s21, v6
	v_cndmask_b32_e64 v14, 0, -1, s[0:1]
	v_cmp_eq_u32_e64 s[0:1], s21, v7
	v_cndmask_b32_e64 v8, 0, -1, vcc
	v_cmp_le_u32_e32 vcc, s20, v5
	v_cndmask_b32_e64 v7, v13, v14, s[0:1]
	v_cndmask_b32_e64 v14, 0, -1, vcc
	v_cmp_eq_u32_e32 vcc, s21, v6
	v_subrev_co_u32_e64 v13, s[0:1], s20, v12
	v_cndmask_b32_e32 v6, v8, v14, vcc
	v_cmp_ne_u32_e32 vcc, 0, v7
	v_cndmask_b32_e32 v7, v12, v13, vcc
	v_cmp_ne_u32_e32 vcc, 0, v6
	v_cndmask_b32_e32 v5, v5, v7, vcc
                                        ; implicit-def: $vgpr7_vgpr8
.LBB5_23:
	s_andn2_saveexec_b64 s[0:1], s[2:3]
	s_cbranch_execz .LBB5_25
; %bb.24:
	v_cvt_f32_u32_e32 v5, s20
	s_sub_i32 s2, 0, s20
	v_rcp_iflag_f32_e32 v5, v5
	v_mul_f32_e32 v5, 0x4f7ffffe, v5
	v_cvt_u32_f32_e32 v5, v5
	v_mul_lo_u32 v6, s2, v5
	v_mul_hi_u32 v6, v5, v6
	v_add_u32_e32 v5, v5, v6
	v_mul_hi_u32 v5, v7, v5
	v_mul_lo_u32 v5, v5, s20
	v_sub_u32_e32 v5, v7, v5
	v_subrev_u32_e32 v6, s20, v5
	v_cmp_le_u32_e32 vcc, s20, v5
	v_cndmask_b32_e32 v5, v5, v6, vcc
	v_subrev_u32_e32 v6, s20, v5
	v_cmp_le_u32_e32 vcc, s20, v5
	v_cndmask_b32_e32 v5, v5, v6, vcc
.LBB5_25:
	s_or_b64 exec, exec, s[0:1]
	v_or_b32_e32 v7, s23, v4
	v_mov_b32_e32 v6, 0
	v_cmp_ne_u64_e32 vcc, 0, v[6:7]
                                        ; implicit-def: $vgpr6_vgpr7
	s_and_saveexec_b64 s[0:1], vcc
	s_xor_b64 s[2:3], exec, s[0:1]
	s_cbranch_execz .LBB5_27
; %bb.26:
	v_madmk_f32 v6, v10, 0x4f800000, v9
	v_rcp_f32_e32 v6, v6
	s_sub_u32 s6, 0, s22
	s_subb_u32 s7, 0, s23
	v_mul_f32_e32 v6, 0x5f7ffffc, v6
	v_mul_f32_e32 v7, 0x2f800000, v6
	v_trunc_f32_e32 v7, v7
	v_madmk_f32 v6, v7, 0xcf800000, v6
	v_cvt_u32_f32_e32 v7, v7
	v_cvt_u32_f32_e32 v6, v6
	v_readfirstlane_b32 s28, v7
	v_readfirstlane_b32 s0, v6
	s_mul_i32 s1, s6, s28
	s_mul_hi_u32 s30, s6, s0
	s_mul_i32 s29, s7, s0
	s_add_i32 s1, s30, s1
	s_add_i32 s1, s1, s29
	s_mul_i32 s31, s6, s0
	s_mul_i32 s30, s0, s1
	s_mul_hi_u32 s33, s0, s31
	s_mul_hi_u32 s29, s0, s1
	s_add_u32 s30, s33, s30
	s_addc_u32 s29, 0, s29
	s_mul_hi_u32 s34, s28, s31
	s_mul_i32 s31, s28, s31
	s_add_u32 s30, s30, s31
	s_mul_hi_u32 s33, s28, s1
	s_addc_u32 s29, s29, s34
	s_addc_u32 s30, s33, 0
	s_mul_i32 s1, s28, s1
	s_add_u32 s1, s29, s1
	s_addc_u32 s29, 0, s30
	s_add_u32 s30, s0, s1
	s_cselect_b64 s[0:1], -1, 0
	s_cmp_lg_u64 s[0:1], 0
	s_addc_u32 s28, s28, s29
	s_mul_i32 s0, s6, s28
	s_mul_hi_u32 s1, s6, s30
	s_add_i32 s0, s1, s0
	s_mul_i32 s7, s7, s30
	s_add_i32 s0, s0, s7
	s_mul_i32 s6, s6, s30
	s_mul_hi_u32 s7, s28, s6
	s_mul_i32 s29, s28, s6
	s_mul_i32 s33, s30, s0
	s_mul_hi_u32 s6, s30, s6
	s_mul_hi_u32 s31, s30, s0
	s_add_u32 s6, s6, s33
	s_addc_u32 s31, 0, s31
	s_add_u32 s6, s6, s29
	s_mul_hi_u32 s1, s28, s0
	s_addc_u32 s6, s31, s7
	s_addc_u32 s1, s1, 0
	s_mul_i32 s0, s28, s0
	s_add_u32 s0, s6, s0
	s_addc_u32 s6, 0, s1
	s_add_u32 s7, s30, s0
	s_cselect_b64 s[0:1], -1, 0
	s_cmp_lg_u64 s[0:1], 0
	s_addc_u32 s6, s28, s6
	v_mad_u64_u32 v[6:7], s[0:1], v3, s6, 0
	v_mul_hi_u32 v8, v3, s7
	v_add_co_u32_e32 v10, vcc, v8, v6
	v_addc_co_u32_e32 v11, vcc, 0, v7, vcc
	v_mad_u64_u32 v[6:7], s[0:1], v4, s7, 0
	v_mad_u64_u32 v[8:9], s[0:1], v4, s6, 0
	v_add_co_u32_e32 v6, vcc, v10, v6
	v_addc_co_u32_e32 v6, vcc, v11, v7, vcc
	v_addc_co_u32_e32 v7, vcc, 0, v9, vcc
	v_add_co_u32_e32 v6, vcc, v6, v8
	v_addc_co_u32_e32 v7, vcc, 0, v7, vcc
	v_mul_lo_u32 v8, s23, v6
	v_mul_lo_u32 v9, s22, v7
	v_mad_u64_u32 v[6:7], s[0:1], s22, v6, 0
	v_add3_u32 v7, v7, v9, v8
	v_sub_u32_e32 v8, v4, v7
	v_mov_b32_e32 v9, s23
	v_sub_co_u32_e32 v6, vcc, v3, v6
	v_subb_co_u32_e64 v8, s[0:1], v8, v9, vcc
	v_subrev_co_u32_e64 v9, s[0:1], s22, v6
	v_subbrev_co_u32_e64 v8, s[0:1], 0, v8, s[0:1]
	v_cmp_le_u32_e64 s[0:1], s23, v8
	v_subb_co_u32_e32 v4, vcc, v4, v7, vcc
	v_cndmask_b32_e64 v10, 0, -1, s[0:1]
	v_cmp_le_u32_e64 s[0:1], s22, v9
	v_cmp_le_u32_e32 vcc, s23, v4
	v_cndmask_b32_e64 v11, 0, -1, s[0:1]
	v_cmp_eq_u32_e64 s[0:1], s23, v8
	v_cndmask_b32_e64 v7, 0, -1, vcc
	v_cmp_le_u32_e32 vcc, s22, v6
	v_cndmask_b32_e64 v8, v10, v11, s[0:1]
	v_cndmask_b32_e64 v11, 0, -1, vcc
	v_cmp_eq_u32_e32 vcc, s23, v4
	v_subrev_co_u32_e64 v10, s[0:1], s22, v9
	v_cndmask_b32_e32 v4, v7, v11, vcc
	v_cmp_ne_u32_e32 vcc, 0, v8
	v_cndmask_b32_e32 v7, v9, v10, vcc
	v_cmp_ne_u32_e32 vcc, 0, v4
	v_cndmask_b32_e32 v6, v6, v7, vcc
                                        ; implicit-def: $vgpr11
.LBB5_27:
	s_andn2_saveexec_b64 s[0:1], s[2:3]
	s_cbranch_execz .LBB5_29
; %bb.28:
	v_rcp_iflag_f32_e32 v4, v11
	s_sub_i32 s2, 0, s22
	v_mul_f32_e32 v4, 0x4f7ffffe, v4
	v_cvt_u32_f32_e32 v4, v4
	v_mul_lo_u32 v6, s2, v4
	v_mul_hi_u32 v6, v4, v6
	v_add_u32_e32 v4, v4, v6
	v_mul_hi_u32 v4, v3, v4
	v_mul_lo_u32 v4, v4, s22
	v_sub_u32_e32 v4, v3, v4
	v_subrev_u32_e32 v6, s22, v4
	v_cmp_le_u32_e32 vcc, s22, v4
	v_cndmask_b32_e32 v4, v4, v6, vcc
	v_subrev_u32_e32 v6, s22, v4
	v_cmp_le_u32_e32 vcc, s22, v4
	v_cndmask_b32_e32 v6, v4, v6, vcc
.LBB5_29:
	s_or_b64 exec, exec, s[0:1]
	s_load_dwordx4 s[0:3], s[4:5], 0x50
	v_cvt_f32_i32_e32 v4, v5
	v_mul_lo_u32 v3, v3, s24
	v_cvt_f32_i32_e32 v6, v6
	s_waitcnt lgkmcnt(0)
	s_add_i32 s3, s14, -1
	v_add_f32_e32 v4, 0.5, v4
	v_sub_u32_e32 v3, v0, v3
	v_mul_f32_e32 v4, s0, v4
	v_cvt_f32_i32_e32 v3, v3
	v_floor_f32_e32 v4, v4
	v_cvt_i32_f32_e32 v4, v4
	s_mul_i32 s0, s18, s17
	v_add_f32_e32 v3, 0.5, v3
	s_mul_hi_u32 s4, s18, s16
	v_mul_f32_e32 v3, s2, v3
	s_add_i32 s0, s4, s0
	v_min_i32_e32 v7, s3, v4
	s_mul_i32 s3, s19, s16
	v_floor_f32_e32 v3, v3
	s_add_i32 s0, s0, s3
	s_mul_i32 s3, s18, s16
	v_cvt_i32_f32_e32 v3, v3
	s_mul_i32 s4, s3, s15
	s_mul_hi_u32 s5, s3, s14
	v_add_f32_e32 v6, 0.5, v6
	s_add_i32 s4, s5, s4
	s_mul_i32 s0, s0, s14
	v_mul_f32_e32 v6, s1, v6
	s_add_i32 s4, s4, s0
	s_add_i32 s0, s18, -1
	v_floor_f32_e32 v6, v6
	v_min_i32_e32 v3, s0, v3
	v_cvt_i32_f32_e32 v6, v6
	s_mul_i32 s2, s3, s14
	v_ashrrev_i32_e32 v4, 31, v3
	v_ashrrev_i32_e32 v5, 31, v2
	v_mul_lo_u32 v9, v2, s4
	v_mad_u64_u32 v[2:3], s[0:1], v2, s2, v[3:4]
	s_add_i32 s0, s16, -1
	v_min_i32_e32 v4, s0, v6
	v_mul_lo_u32 v10, v5, s2
	v_ashrrev_i32_e32 v5, 31, v4
	v_mad_u64_u32 v[4:5], s[0:1], s16, v7, v[4:5]
	v_add3_u32 v3, v10, v3, v9
	v_ashrrev_i32_e32 v8, 31, v7
	v_mad_u64_u32 v[2:3], s[0:1], v4, s18, v[2:3]
	s_mul_i32 s0, s2, s13
	s_mul_hi_u32 s1, s2, s12
	s_mul_i32 s4, s4, s12
	s_add_i32 s0, s1, s0
	v_mul_lo_u32 v6, s16, v8
	v_mul_lo_u32 v7, s17, v7
	s_add_i32 s7, s0, s4
	s_mul_i32 s0, s24, s23
	s_mul_hi_u32 s1, s24, s22
	s_add_i32 s0, s1, s0
	s_mul_i32 s1, s25, s22
	s_add_i32 s0, s0, s1
	s_mul_i32 s1, s24, s22
	s_mul_i32 s6, s2, s12
	;; [unrolled: 1-line block ×3, first 2 shown]
	s_mul_hi_u32 s3, s1, s20
	v_add3_u32 v5, v7, v5, v6
	s_add_i32 s2, s3, s2
	s_mul_i32 s0, s0, s20
	v_mul_lo_u32 v5, v5, s18
	v_mul_lo_u32 v4, v4, s19
	s_add_i32 s0, s2, s0
	s_mul_i32 s2, s1, s20
	s_mul_i32 s1, s2, s13
	s_mul_hi_u32 s3, s2, s12
	v_lshlrev_b64 v[0:1], 3, v[0:1]
	s_mul_i32 s0, s0, s12
	s_add_i32 s1, s3, s1
	s_add_i32 s1, s1, s0
	s_mul_i32 s0, s2, s12
	v_add3_u32 v3, v5, v3, v4
	v_mov_b32_e32 v4, s27
	v_add_co_u32_e32 v0, vcc, s26, v0
	s_lshl_b64 s[2:3], s[0:1], 3
	v_addc_co_u32_e32 v1, vcc, v4, v1, vcc
	s_mov_b64 s[4:5], 0
	v_mov_b32_e32 v4, s9
	v_mov_b32_e32 v5, s7
	;; [unrolled: 1-line block ×3, first 2 shown]
.LBB5_30:                               ; =>This Inner Loop Header: Depth=1
	v_lshlrev_b64 v[7:8], 3, v[2:3]
	s_add_u32 s4, s4, 1
	v_add_co_u32_e32 v7, vcc, s8, v7
	v_addc_co_u32_e32 v8, vcc, v4, v8, vcc
	global_load_dwordx2 v[7:8], v[7:8], off
	s_addc_u32 s5, s5, 0
	v_add_co_u32_e32 v2, vcc, s6, v2
	v_mov_b32_e32 v10, s5
	v_addc_co_u32_e32 v3, vcc, v3, v5, vcc
	v_mov_b32_e32 v9, s4
	v_cmp_gt_u64_e32 vcc, s[10:11], v[9:10]
	s_and_b64 vcc, exec, vcc
	s_waitcnt vmcnt(0)
	global_store_dwordx2 v[0:1], v[7:8], off
	v_add_co_u32_e64 v0, s[0:1], s2, v0
	v_addc_co_u32_e64 v1, s[0:1], v1, v6, s[0:1]
	s_cbranch_vccnz .LBB5_30
.LBB5_31:
	s_endpgm
	.section	.rodata,"a",@progbits
	.p2align	6, 0x0
	.amdhsa_kernel _ZN2at6native12_GLOBAL__N_128upsample_nearest3d_out_frameIdXadL_ZNS0_43nearest_neighbor_exact_compute_source_indexEfiiEEEEvPKT_mmmmmmmmPS3_fff
		.amdhsa_group_segment_fixed_size 0
		.amdhsa_private_segment_fixed_size 0
		.amdhsa_kernarg_size 352
		.amdhsa_user_sgpr_count 6
		.amdhsa_user_sgpr_private_segment_buffer 1
		.amdhsa_user_sgpr_dispatch_ptr 0
		.amdhsa_user_sgpr_queue_ptr 0
		.amdhsa_user_sgpr_kernarg_segment_ptr 1
		.amdhsa_user_sgpr_dispatch_id 0
		.amdhsa_user_sgpr_flat_scratch_init 0
		.amdhsa_user_sgpr_private_segment_size 0
		.amdhsa_uses_dynamic_stack 0
		.amdhsa_system_sgpr_private_segment_wavefront_offset 0
		.amdhsa_system_sgpr_workgroup_id_x 1
		.amdhsa_system_sgpr_workgroup_id_y 0
		.amdhsa_system_sgpr_workgroup_id_z 0
		.amdhsa_system_sgpr_workgroup_info 0
		.amdhsa_system_vgpr_workitem_id 0
		.amdhsa_next_free_vgpr 19
		.amdhsa_next_free_sgpr 39
		.amdhsa_reserve_vcc 1
		.amdhsa_reserve_flat_scratch 0
		.amdhsa_float_round_mode_32 0
		.amdhsa_float_round_mode_16_64 0
		.amdhsa_float_denorm_mode_32 3
		.amdhsa_float_denorm_mode_16_64 3
		.amdhsa_dx10_clamp 1
		.amdhsa_ieee_mode 1
		.amdhsa_fp16_overflow 0
		.amdhsa_exception_fp_ieee_invalid_op 0
		.amdhsa_exception_fp_denorm_src 0
		.amdhsa_exception_fp_ieee_div_zero 0
		.amdhsa_exception_fp_ieee_overflow 0
		.amdhsa_exception_fp_ieee_underflow 0
		.amdhsa_exception_fp_ieee_inexact 0
		.amdhsa_exception_int_div_zero 0
	.end_amdhsa_kernel
	.section	.text._ZN2at6native12_GLOBAL__N_128upsample_nearest3d_out_frameIdXadL_ZNS0_43nearest_neighbor_exact_compute_source_indexEfiiEEEEvPKT_mmmmmmmmPS3_fff,"axG",@progbits,_ZN2at6native12_GLOBAL__N_128upsample_nearest3d_out_frameIdXadL_ZNS0_43nearest_neighbor_exact_compute_source_indexEfiiEEEEvPKT_mmmmmmmmPS3_fff,comdat
.Lfunc_end5:
	.size	_ZN2at6native12_GLOBAL__N_128upsample_nearest3d_out_frameIdXadL_ZNS0_43nearest_neighbor_exact_compute_source_indexEfiiEEEEvPKT_mmmmmmmmPS3_fff, .Lfunc_end5-_ZN2at6native12_GLOBAL__N_128upsample_nearest3d_out_frameIdXadL_ZNS0_43nearest_neighbor_exact_compute_source_indexEfiiEEEEvPKT_mmmmmmmmPS3_fff
                                        ; -- End function
	.set _ZN2at6native12_GLOBAL__N_128upsample_nearest3d_out_frameIdXadL_ZNS0_43nearest_neighbor_exact_compute_source_indexEfiiEEEEvPKT_mmmmmmmmPS3_fff.num_vgpr, 19
	.set _ZN2at6native12_GLOBAL__N_128upsample_nearest3d_out_frameIdXadL_ZNS0_43nearest_neighbor_exact_compute_source_indexEfiiEEEEvPKT_mmmmmmmmPS3_fff.num_agpr, 0
	.set _ZN2at6native12_GLOBAL__N_128upsample_nearest3d_out_frameIdXadL_ZNS0_43nearest_neighbor_exact_compute_source_indexEfiiEEEEvPKT_mmmmmmmmPS3_fff.numbered_sgpr, 39
	.set _ZN2at6native12_GLOBAL__N_128upsample_nearest3d_out_frameIdXadL_ZNS0_43nearest_neighbor_exact_compute_source_indexEfiiEEEEvPKT_mmmmmmmmPS3_fff.num_named_barrier, 0
	.set _ZN2at6native12_GLOBAL__N_128upsample_nearest3d_out_frameIdXadL_ZNS0_43nearest_neighbor_exact_compute_source_indexEfiiEEEEvPKT_mmmmmmmmPS3_fff.private_seg_size, 0
	.set _ZN2at6native12_GLOBAL__N_128upsample_nearest3d_out_frameIdXadL_ZNS0_43nearest_neighbor_exact_compute_source_indexEfiiEEEEvPKT_mmmmmmmmPS3_fff.uses_vcc, 1
	.set _ZN2at6native12_GLOBAL__N_128upsample_nearest3d_out_frameIdXadL_ZNS0_43nearest_neighbor_exact_compute_source_indexEfiiEEEEvPKT_mmmmmmmmPS3_fff.uses_flat_scratch, 0
	.set _ZN2at6native12_GLOBAL__N_128upsample_nearest3d_out_frameIdXadL_ZNS0_43nearest_neighbor_exact_compute_source_indexEfiiEEEEvPKT_mmmmmmmmPS3_fff.has_dyn_sized_stack, 0
	.set _ZN2at6native12_GLOBAL__N_128upsample_nearest3d_out_frameIdXadL_ZNS0_43nearest_neighbor_exact_compute_source_indexEfiiEEEEvPKT_mmmmmmmmPS3_fff.has_recursion, 0
	.set _ZN2at6native12_GLOBAL__N_128upsample_nearest3d_out_frameIdXadL_ZNS0_43nearest_neighbor_exact_compute_source_indexEfiiEEEEvPKT_mmmmmmmmPS3_fff.has_indirect_call, 0
	.section	.AMDGPU.csdata,"",@progbits
; Kernel info:
; codeLenInByte = 5360
; TotalNumSgprs: 43
; NumVgprs: 19
; ScratchSize: 0
; MemoryBound: 0
; FloatMode: 240
; IeeeMode: 1
; LDSByteSize: 0 bytes/workgroup (compile time only)
; SGPRBlocks: 5
; VGPRBlocks: 4
; NumSGPRsForWavesPerEU: 43
; NumVGPRsForWavesPerEU: 19
; Occupancy: 10
; WaveLimiterHint : 0
; COMPUTE_PGM_RSRC2:SCRATCH_EN: 0
; COMPUTE_PGM_RSRC2:USER_SGPR: 6
; COMPUTE_PGM_RSRC2:TRAP_HANDLER: 0
; COMPUTE_PGM_RSRC2:TGID_X_EN: 1
; COMPUTE_PGM_RSRC2:TGID_Y_EN: 0
; COMPUTE_PGM_RSRC2:TGID_Z_EN: 0
; COMPUTE_PGM_RSRC2:TIDIG_COMP_CNT: 0
	.section	.text._ZN2at6native12_GLOBAL__N_128upsample_nearest3d_out_frameIfXadL_ZNS0_43nearest_neighbor_exact_compute_source_indexEfiiEEEEvPKT_mmmmmmmmPS3_fff,"axG",@progbits,_ZN2at6native12_GLOBAL__N_128upsample_nearest3d_out_frameIfXadL_ZNS0_43nearest_neighbor_exact_compute_source_indexEfiiEEEEvPKT_mmmmmmmmPS3_fff,comdat
	.globl	_ZN2at6native12_GLOBAL__N_128upsample_nearest3d_out_frameIfXadL_ZNS0_43nearest_neighbor_exact_compute_source_indexEfiiEEEEvPKT_mmmmmmmmPS3_fff ; -- Begin function _ZN2at6native12_GLOBAL__N_128upsample_nearest3d_out_frameIfXadL_ZNS0_43nearest_neighbor_exact_compute_source_indexEfiiEEEEvPKT_mmmmmmmmPS3_fff
	.p2align	8
	.type	_ZN2at6native12_GLOBAL__N_128upsample_nearest3d_out_frameIfXadL_ZNS0_43nearest_neighbor_exact_compute_source_indexEfiiEEEEvPKT_mmmmmmmmPS3_fff,@function
_ZN2at6native12_GLOBAL__N_128upsample_nearest3d_out_frameIfXadL_ZNS0_43nearest_neighbor_exact_compute_source_indexEfiiEEEEvPKT_mmmmmmmmPS3_fff: ; @_ZN2at6native12_GLOBAL__N_128upsample_nearest3d_out_frameIfXadL_ZNS0_43nearest_neighbor_exact_compute_source_indexEfiiEEEEvPKT_mmmmmmmmPS3_fff
; %bb.0:
	s_load_dword s0, s[4:5], 0x6c
	s_load_dwordx4 s[24:27], s[4:5], 0x40
	s_load_dwordx16 s[8:23], s[4:5], 0x0
	v_mov_b32_e32 v2, 0
	v_mov_b32_e32 v1, v2
	s_waitcnt lgkmcnt(0)
	s_and_b32 s0, s0, 0xffff
	v_mov_b32_e32 v3, s6
	v_mad_u64_u32 v[0:1], s[0:1], s0, v3, v[0:1]
	s_mul_i32 s0, s22, s21
	s_mul_hi_u32 s1, s22, s20
	s_add_i32 s1, s1, s0
	s_mul_i32 s0, s23, s20
	s_add_i32 s1, s1, s0
	s_mul_i32 s0, s22, s20
	s_mul_i32 s2, s0, s13
	s_mul_hi_u32 s3, s0, s12
	s_add_i32 s2, s3, s2
	s_mul_i32 s3, s1, s12
	s_mul_i32 s6, s0, s12
	s_add_i32 s2, s2, s3
	s_mul_i32 s3, s6, s25
	s_mul_hi_u32 s7, s6, s24
	s_mul_i32 s2, s2, s24
	s_add_i32 s3, s7, s3
	s_add_i32 s3, s3, s2
	s_mul_i32 s2, s6, s24
	v_cmp_gt_u64_e32 vcc, s[2:3], v[0:1]
	s_cmp_lg_u64 s[10:11], 0
	s_cselect_b64 s[2:3], -1, 0
	s_and_b64 s[2:3], vcc, s[2:3]
	s_and_saveexec_b64 s[6:7], s[2:3]
	s_cbranch_execz .LBB6_31
; %bb.1:
	s_mul_i32 s2, s0, s25
	s_mul_hi_u32 s3, s0, s24
	s_add_i32 s2, s3, s2
	s_mul_i32 s1, s1, s24
	s_add_i32 s1, s2, s1
	v_or_b32_e32 v3, s1, v1
	v_cmp_ne_u64_e32 vcc, 0, v[2:3]
	s_mul_i32 s30, s0, s24
                                        ; implicit-def: $vgpr4_vgpr5
	s_and_saveexec_b64 s[2:3], vcc
	s_xor_b64 s[2:3], exec, s[2:3]
	s_cbranch_execz .LBB6_3
; %bb.2:
	s_ashr_i32 s6, s1, 31
	s_add_u32 s0, s30, s6
	s_mov_b32 s7, s6
	s_addc_u32 s1, s1, s6
	s_xor_b64 s[28:29], s[0:1], s[6:7]
	v_cvt_f32_u32_e32 v2, s28
	v_cvt_f32_u32_e32 v3, s29
	s_sub_u32 s7, 0, s28
	s_subb_u32 s31, 0, s29
	v_ashrrev_i32_e32 v6, 31, v1
	v_madmk_f32 v2, v3, 0x4f800000, v2
	v_rcp_f32_e32 v2, v2
	v_mul_f32_e32 v2, 0x5f7ffffc, v2
	v_mul_f32_e32 v3, 0x2f800000, v2
	v_trunc_f32_e32 v3, v3
	v_madmk_f32 v2, v3, 0xcf800000, v2
	v_cvt_u32_f32_e32 v3, v3
	v_cvt_u32_f32_e32 v2, v2
	v_readfirstlane_b32 s33, v3
	v_readfirstlane_b32 s0, v2
	s_mul_i32 s1, s7, s33
	s_mul_hi_u32 s35, s7, s0
	s_mul_i32 s34, s31, s0
	s_add_i32 s1, s35, s1
	s_add_i32 s1, s1, s34
	s_mul_i32 s36, s7, s0
	s_mul_i32 s35, s0, s1
	s_mul_hi_u32 s37, s0, s36
	s_mul_hi_u32 s34, s0, s1
	s_add_u32 s35, s37, s35
	s_addc_u32 s34, 0, s34
	s_mul_hi_u32 s38, s33, s36
	s_mul_i32 s36, s33, s36
	s_add_u32 s35, s35, s36
	s_mul_hi_u32 s37, s33, s1
	s_addc_u32 s34, s34, s38
	s_addc_u32 s35, s37, 0
	s_mul_i32 s1, s33, s1
	s_add_u32 s1, s34, s1
	s_addc_u32 s34, 0, s35
	s_add_u32 s35, s0, s1
	s_cselect_b64 s[0:1], -1, 0
	s_cmp_lg_u64 s[0:1], 0
	s_addc_u32 s33, s33, s34
	s_mul_i32 s0, s7, s33
	s_mul_hi_u32 s1, s7, s35
	s_add_i32 s0, s1, s0
	s_mul_i32 s31, s31, s35
	s_add_i32 s0, s0, s31
	s_mul_i32 s7, s7, s35
	s_mul_hi_u32 s31, s33, s7
	s_mul_i32 s34, s33, s7
	s_mul_i32 s37, s35, s0
	s_mul_hi_u32 s7, s35, s7
	s_mul_hi_u32 s36, s35, s0
	s_add_u32 s7, s7, s37
	s_addc_u32 s36, 0, s36
	s_add_u32 s7, s7, s34
	s_mul_hi_u32 s1, s33, s0
	s_addc_u32 s7, s36, s31
	s_addc_u32 s1, s1, 0
	s_mul_i32 s0, s33, s0
	s_add_u32 s0, s7, s0
	s_addc_u32 s7, 0, s1
	s_add_u32 s31, s35, s0
	s_cselect_b64 s[0:1], -1, 0
	s_cmp_lg_u64 s[0:1], 0
	v_add_co_u32_e32 v2, vcc, v0, v6
	s_addc_u32 s7, s33, s7
	v_xor_b32_e32 v7, v2, v6
	v_mad_u64_u32 v[2:3], s[0:1], v7, s7, 0
	v_mul_hi_u32 v5, v7, s31
	v_addc_co_u32_e32 v4, vcc, v1, v6, vcc
	v_xor_b32_e32 v8, v4, v6
	v_add_co_u32_e32 v9, vcc, v5, v2
	v_addc_co_u32_e32 v10, vcc, 0, v3, vcc
	v_mad_u64_u32 v[2:3], s[0:1], v8, s31, 0
	v_mad_u64_u32 v[4:5], s[0:1], v8, s7, 0
	v_add_co_u32_e32 v2, vcc, v9, v2
	v_addc_co_u32_e32 v2, vcc, v10, v3, vcc
	v_addc_co_u32_e32 v3, vcc, 0, v5, vcc
	v_add_co_u32_e32 v4, vcc, v2, v4
	v_addc_co_u32_e32 v5, vcc, 0, v3, vcc
	v_mul_lo_u32 v9, s29, v4
	v_mul_lo_u32 v10, s28, v5
	v_mad_u64_u32 v[2:3], s[0:1], s28, v4, 0
	v_add3_u32 v3, v3, v10, v9
	v_sub_u32_e32 v9, v8, v3
	v_mov_b32_e32 v10, s29
	v_sub_co_u32_e32 v2, vcc, v7, v2
	v_subb_co_u32_e64 v7, s[0:1], v9, v10, vcc
	v_subrev_co_u32_e64 v9, s[0:1], s28, v2
	v_subbrev_co_u32_e64 v7, s[0:1], 0, v7, s[0:1]
	v_cmp_le_u32_e64 s[0:1], s29, v7
	v_cndmask_b32_e64 v10, 0, -1, s[0:1]
	v_cmp_le_u32_e64 s[0:1], s28, v9
	v_cndmask_b32_e64 v9, 0, -1, s[0:1]
	v_cmp_eq_u32_e64 s[0:1], s29, v7
	v_cndmask_b32_e64 v7, v10, v9, s[0:1]
	v_add_co_u32_e64 v9, s[0:1], 2, v4
	v_subb_co_u32_e32 v3, vcc, v8, v3, vcc
	v_addc_co_u32_e64 v10, s[0:1], 0, v5, s[0:1]
	v_cmp_le_u32_e32 vcc, s29, v3
	v_add_co_u32_e64 v11, s[0:1], 1, v4
	v_cndmask_b32_e64 v8, 0, -1, vcc
	v_cmp_le_u32_e32 vcc, s28, v2
	v_addc_co_u32_e64 v12, s[0:1], 0, v5, s[0:1]
	v_cndmask_b32_e64 v2, 0, -1, vcc
	v_cmp_eq_u32_e32 vcc, s29, v3
	v_cmp_ne_u32_e64 s[0:1], 0, v7
	v_cndmask_b32_e32 v2, v8, v2, vcc
	v_cndmask_b32_e64 v7, v12, v10, s[0:1]
	v_cmp_ne_u32_e32 vcc, 0, v2
	v_cndmask_b32_e64 v3, v11, v9, s[0:1]
	v_cndmask_b32_e32 v2, v5, v7, vcc
	v_cndmask_b32_e32 v3, v4, v3, vcc
	v_xor_b32_e32 v5, s6, v6
	v_xor_b32_e32 v3, v3, v5
	;; [unrolled: 1-line block ×3, first 2 shown]
	v_sub_co_u32_e32 v4, vcc, v3, v5
	v_subb_co_u32_e32 v5, vcc, v2, v5, vcc
.LBB6_3:
	s_andn2_saveexec_b64 s[0:1], s[2:3]
	s_cbranch_execz .LBB6_5
; %bb.4:
	v_cvt_f32_u32_e32 v2, s30
	s_sub_i32 s2, 0, s30
	v_rcp_iflag_f32_e32 v2, v2
	v_mul_f32_e32 v2, 0x4f7ffffe, v2
	v_cvt_u32_f32_e32 v2, v2
	v_mul_lo_u32 v3, s2, v2
	v_mul_hi_u32 v3, v2, v3
	v_add_u32_e32 v2, v2, v3
	v_mul_hi_u32 v2, v0, v2
	v_mul_lo_u32 v3, v2, s30
	v_add_u32_e32 v4, 1, v2
	v_sub_u32_e32 v3, v0, v3
	v_subrev_u32_e32 v5, s30, v3
	v_cmp_le_u32_e32 vcc, s30, v3
	v_cndmask_b32_e32 v3, v3, v5, vcc
	v_cndmask_b32_e32 v2, v2, v4, vcc
	v_add_u32_e32 v4, 1, v2
	v_cmp_le_u32_e32 vcc, s30, v3
	v_cndmask_b32_e32 v4, v2, v4, vcc
	v_mov_b32_e32 v5, 0
.LBB6_5:
	s_or_b64 exec, exec, s[0:1]
	v_or_b32_e32 v3, s13, v5
	v_mov_b32_e32 v2, 0
	v_cmp_ne_u64_e32 vcc, 0, v[2:3]
                                        ; implicit-def: $vgpr2_vgpr3
	s_and_saveexec_b64 s[0:1], vcc
	s_xor_b64 s[2:3], exec, s[0:1]
	s_cbranch_execz .LBB6_7
; %bb.6:
	v_cvt_f32_u32_e32 v2, s12
	v_cvt_f32_u32_e32 v3, s13
	s_sub_u32 s6, 0, s12
	s_subb_u32 s7, 0, s13
	v_madmk_f32 v2, v3, 0x4f800000, v2
	v_rcp_f32_e32 v2, v2
	v_mul_f32_e32 v2, 0x5f7ffffc, v2
	v_mul_f32_e32 v3, 0x2f800000, v2
	v_trunc_f32_e32 v3, v3
	v_madmk_f32 v2, v3, 0xcf800000, v2
	v_cvt_u32_f32_e32 v3, v3
	v_cvt_u32_f32_e32 v2, v2
	v_readfirstlane_b32 s28, v3
	v_readfirstlane_b32 s0, v2
	s_mul_i32 s1, s6, s28
	s_mul_hi_u32 s30, s6, s0
	s_mul_i32 s29, s7, s0
	s_add_i32 s1, s30, s1
	s_mul_i32 s31, s6, s0
	s_add_i32 s1, s1, s29
	s_mul_i32 s30, s0, s1
	s_mul_hi_u32 s33, s0, s31
	s_mul_hi_u32 s29, s0, s1
	s_add_u32 s30, s33, s30
	s_addc_u32 s29, 0, s29
	s_mul_hi_u32 s34, s28, s31
	s_mul_i32 s31, s28, s31
	s_add_u32 s30, s30, s31
	s_mul_hi_u32 s33, s28, s1
	s_addc_u32 s29, s29, s34
	s_addc_u32 s30, s33, 0
	s_mul_i32 s1, s28, s1
	s_add_u32 s1, s29, s1
	s_addc_u32 s29, 0, s30
	s_add_u32 s30, s0, s1
	s_cselect_b64 s[0:1], -1, 0
	s_cmp_lg_u64 s[0:1], 0
	s_addc_u32 s28, s28, s29
	s_mul_i32 s0, s6, s28
	s_mul_hi_u32 s1, s6, s30
	s_add_i32 s0, s1, s0
	s_mul_i32 s7, s7, s30
	s_add_i32 s0, s0, s7
	s_mul_i32 s6, s6, s30
	s_mul_hi_u32 s7, s28, s6
	s_mul_i32 s29, s28, s6
	s_mul_i32 s33, s30, s0
	s_mul_hi_u32 s6, s30, s6
	s_mul_hi_u32 s31, s30, s0
	s_add_u32 s6, s6, s33
	s_addc_u32 s31, 0, s31
	s_add_u32 s6, s6, s29
	s_mul_hi_u32 s1, s28, s0
	s_addc_u32 s6, s31, s7
	s_addc_u32 s1, s1, 0
	s_mul_i32 s0, s28, s0
	s_add_u32 s0, s6, s0
	s_addc_u32 s6, 0, s1
	s_add_u32 s7, s30, s0
	s_cselect_b64 s[0:1], -1, 0
	s_cmp_lg_u64 s[0:1], 0
	s_addc_u32 s6, s28, s6
	v_mad_u64_u32 v[2:3], s[0:1], v4, s6, 0
	v_mul_hi_u32 v6, v4, s7
	v_add_co_u32_e32 v8, vcc, v6, v2
	v_addc_co_u32_e32 v9, vcc, 0, v3, vcc
	v_mad_u64_u32 v[2:3], s[0:1], v5, s7, 0
	v_mad_u64_u32 v[6:7], s[0:1], v5, s6, 0
	v_add_co_u32_e32 v2, vcc, v8, v2
	v_addc_co_u32_e32 v2, vcc, v9, v3, vcc
	v_addc_co_u32_e32 v3, vcc, 0, v7, vcc
	v_add_co_u32_e32 v2, vcc, v2, v6
	v_addc_co_u32_e32 v3, vcc, 0, v3, vcc
	v_mul_lo_u32 v6, s13, v2
	v_mul_lo_u32 v7, s12, v3
	v_mad_u64_u32 v[2:3], s[0:1], s12, v2, 0
	v_add3_u32 v3, v3, v7, v6
	v_sub_u32_e32 v6, v5, v3
	v_mov_b32_e32 v7, s13
	v_sub_co_u32_e32 v2, vcc, v4, v2
	v_subb_co_u32_e64 v4, s[0:1], v6, v7, vcc
	v_subrev_co_u32_e64 v6, s[0:1], s12, v2
	v_subbrev_co_u32_e64 v4, s[0:1], 0, v4, s[0:1]
	v_cmp_le_u32_e64 s[0:1], s13, v4
	v_subb_co_u32_e32 v3, vcc, v5, v3, vcc
	v_cndmask_b32_e64 v7, 0, -1, s[0:1]
	v_cmp_le_u32_e64 s[0:1], s12, v6
	v_cmp_le_u32_e32 vcc, s13, v3
	v_cndmask_b32_e64 v8, 0, -1, s[0:1]
	v_cmp_eq_u32_e64 s[0:1], s13, v4
	v_cndmask_b32_e64 v5, 0, -1, vcc
	v_cmp_le_u32_e32 vcc, s12, v2
	v_cndmask_b32_e64 v4, v7, v8, s[0:1]
	v_cndmask_b32_e64 v8, 0, -1, vcc
	v_cmp_eq_u32_e32 vcc, s13, v3
	v_subrev_co_u32_e64 v7, s[0:1], s12, v6
	v_cndmask_b32_e32 v3, v5, v8, vcc
	v_cmp_ne_u32_e32 vcc, 0, v4
	v_cndmask_b32_e32 v4, v6, v7, vcc
	v_cmp_ne_u32_e32 vcc, 0, v3
	v_cndmask_b32_e32 v2, v2, v4, vcc
                                        ; implicit-def: $vgpr4_vgpr5
.LBB6_7:
	s_andn2_saveexec_b64 s[0:1], s[2:3]
	s_cbranch_execz .LBB6_9
; %bb.8:
	v_cvt_f32_u32_e32 v2, s12
	s_sub_i32 s2, 0, s12
	v_rcp_iflag_f32_e32 v2, v2
	v_mul_f32_e32 v2, 0x4f7ffffe, v2
	v_cvt_u32_f32_e32 v2, v2
	v_mul_lo_u32 v3, s2, v2
	v_mul_hi_u32 v3, v2, v3
	v_add_u32_e32 v2, v2, v3
	v_mul_hi_u32 v2, v4, v2
	v_mul_lo_u32 v2, v2, s12
	v_sub_u32_e32 v2, v4, v2
	v_subrev_u32_e32 v3, s12, v2
	v_cmp_le_u32_e32 vcc, s12, v2
	v_cndmask_b32_e32 v2, v2, v3, vcc
	v_subrev_u32_e32 v3, s12, v2
	v_cmp_le_u32_e32 vcc, s12, v2
	v_cndmask_b32_e32 v2, v2, v3, vcc
.LBB6_9:
	s_or_b64 exec, exec, s[0:1]
	v_cvt_f32_u32_e32 v12, s24
	v_cvt_f32_u32_e32 v13, s25
	v_or_b32_e32 v4, s25, v1
	v_mov_b32_e32 v3, 0
	v_cmp_ne_u64_e32 vcc, 0, v[3:4]
                                        ; implicit-def: $vgpr3_vgpr4
	s_and_saveexec_b64 s[0:1], vcc
	s_xor_b64 s[2:3], exec, s[0:1]
	s_cbranch_execz .LBB6_11
; %bb.10:
	v_madmk_f32 v3, v13, 0x4f800000, v12
	v_rcp_f32_e32 v3, v3
	s_sub_u32 s6, 0, s24
	s_subb_u32 s7, 0, s25
	v_mul_f32_e32 v3, 0x5f7ffffc, v3
	v_mul_f32_e32 v4, 0x2f800000, v3
	v_trunc_f32_e32 v4, v4
	v_madmk_f32 v3, v4, 0xcf800000, v3
	v_cvt_u32_f32_e32 v4, v4
	v_cvt_u32_f32_e32 v3, v3
	v_readfirstlane_b32 s28, v4
	v_readfirstlane_b32 s0, v3
	s_mul_i32 s1, s6, s28
	s_mul_hi_u32 s30, s6, s0
	s_mul_i32 s29, s7, s0
	s_add_i32 s1, s30, s1
	s_add_i32 s1, s1, s29
	s_mul_i32 s31, s6, s0
	s_mul_i32 s30, s0, s1
	s_mul_hi_u32 s33, s0, s31
	s_mul_hi_u32 s29, s0, s1
	s_add_u32 s30, s33, s30
	s_addc_u32 s29, 0, s29
	s_mul_hi_u32 s34, s28, s31
	s_mul_i32 s31, s28, s31
	s_add_u32 s30, s30, s31
	s_mul_hi_u32 s33, s28, s1
	s_addc_u32 s29, s29, s34
	s_addc_u32 s30, s33, 0
	s_mul_i32 s1, s28, s1
	s_add_u32 s1, s29, s1
	s_addc_u32 s29, 0, s30
	s_add_u32 s30, s0, s1
	s_cselect_b64 s[0:1], -1, 0
	s_cmp_lg_u64 s[0:1], 0
	s_addc_u32 s28, s28, s29
	s_mul_i32 s0, s6, s28
	s_mul_hi_u32 s1, s6, s30
	s_add_i32 s0, s1, s0
	s_mul_i32 s7, s7, s30
	s_add_i32 s0, s0, s7
	s_mul_i32 s6, s6, s30
	s_mul_hi_u32 s7, s28, s6
	s_mul_i32 s29, s28, s6
	s_mul_i32 s33, s30, s0
	s_mul_hi_u32 s6, s30, s6
	s_mul_hi_u32 s31, s30, s0
	s_add_u32 s6, s6, s33
	s_addc_u32 s31, 0, s31
	s_add_u32 s6, s6, s29
	s_mul_hi_u32 s1, s28, s0
	s_addc_u32 s6, s31, s7
	s_addc_u32 s1, s1, 0
	s_mul_i32 s0, s28, s0
	s_add_u32 s0, s6, s0
	s_addc_u32 s6, 0, s1
	s_add_u32 s7, s30, s0
	s_cselect_b64 s[0:1], -1, 0
	s_cmp_lg_u64 s[0:1], 0
	s_addc_u32 s6, s28, s6
	v_mad_u64_u32 v[3:4], s[0:1], v0, s6, 0
	v_mul_hi_u32 v5, v0, s7
	v_add_co_u32_e32 v7, vcc, v5, v3
	v_addc_co_u32_e32 v8, vcc, 0, v4, vcc
	v_mad_u64_u32 v[3:4], s[0:1], v1, s7, 0
	v_mad_u64_u32 v[5:6], s[0:1], v1, s6, 0
	v_add_co_u32_e32 v3, vcc, v7, v3
	v_addc_co_u32_e32 v3, vcc, v8, v4, vcc
	v_addc_co_u32_e32 v4, vcc, 0, v6, vcc
	v_add_co_u32_e32 v5, vcc, v3, v5
	v_addc_co_u32_e32 v6, vcc, 0, v4, vcc
	v_mul_lo_u32 v7, s25, v5
	v_mul_lo_u32 v8, s24, v6
	v_mad_u64_u32 v[3:4], s[0:1], s24, v5, 0
	v_add3_u32 v4, v4, v8, v7
	v_sub_u32_e32 v7, v1, v4
	v_mov_b32_e32 v8, s25
	v_sub_co_u32_e32 v3, vcc, v0, v3
	v_subb_co_u32_e64 v7, s[0:1], v7, v8, vcc
	v_subrev_co_u32_e64 v8, s[0:1], s24, v3
	v_subbrev_co_u32_e64 v7, s[0:1], 0, v7, s[0:1]
	v_cmp_le_u32_e64 s[0:1], s25, v7
	v_cndmask_b32_e64 v9, 0, -1, s[0:1]
	v_cmp_le_u32_e64 s[0:1], s24, v8
	v_cndmask_b32_e64 v8, 0, -1, s[0:1]
	v_cmp_eq_u32_e64 s[0:1], s25, v7
	v_cndmask_b32_e64 v7, v9, v8, s[0:1]
	v_add_co_u32_e64 v8, s[0:1], 2, v5
	v_addc_co_u32_e64 v9, s[0:1], 0, v6, s[0:1]
	v_add_co_u32_e64 v10, s[0:1], 1, v5
	v_addc_co_u32_e64 v11, s[0:1], 0, v6, s[0:1]
	v_subb_co_u32_e32 v4, vcc, v1, v4, vcc
	v_cmp_ne_u32_e64 s[0:1], 0, v7
	v_cmp_le_u32_e32 vcc, s25, v4
	v_cndmask_b32_e64 v7, v11, v9, s[0:1]
	v_cndmask_b32_e64 v9, 0, -1, vcc
	v_cmp_le_u32_e32 vcc, s24, v3
	v_cndmask_b32_e64 v3, 0, -1, vcc
	v_cmp_eq_u32_e32 vcc, s25, v4
	v_cndmask_b32_e32 v3, v9, v3, vcc
	v_cmp_ne_u32_e32 vcc, 0, v3
	v_cndmask_b32_e64 v3, v10, v8, s[0:1]
	v_cndmask_b32_e32 v4, v6, v7, vcc
	v_cndmask_b32_e32 v3, v5, v3, vcc
.LBB6_11:
	s_or_saveexec_b64 s[0:1], s[2:3]
	v_cvt_f32_u32_e32 v14, s24
	s_xor_b64 exec, exec, s[0:1]
	s_cbranch_execz .LBB6_13
; %bb.12:
	v_rcp_iflag_f32_e32 v3, v14
	s_sub_i32 s2, 0, s24
	v_mul_f32_e32 v3, 0x4f7ffffe, v3
	v_cvt_u32_f32_e32 v3, v3
	v_mul_lo_u32 v4, s2, v3
	v_mul_hi_u32 v4, v3, v4
	v_add_u32_e32 v3, v3, v4
	v_mul_hi_u32 v3, v0, v3
	v_mul_lo_u32 v4, v3, s24
	v_add_u32_e32 v5, 1, v3
	v_sub_u32_e32 v4, v0, v4
	v_subrev_u32_e32 v6, s24, v4
	v_cmp_le_u32_e32 vcc, s24, v4
	v_cndmask_b32_e32 v4, v4, v6, vcc
	v_cndmask_b32_e32 v3, v3, v5, vcc
	v_add_u32_e32 v5, 1, v3
	v_cmp_le_u32_e32 vcc, s24, v4
	v_cndmask_b32_e32 v3, v3, v5, vcc
	v_mov_b32_e32 v4, 0
.LBB6_13:
	s_or_b64 exec, exec, s[0:1]
	v_cvt_f32_u32_e32 v9, s22
	v_cvt_f32_u32_e32 v10, s23
	v_or_b32_e32 v6, s23, v1
	v_mov_b32_e32 v5, 0
	v_cmp_ne_u64_e32 vcc, 0, v[5:6]
                                        ; implicit-def: $vgpr5_vgpr6
	s_and_saveexec_b64 s[0:1], vcc
	s_xor_b64 s[2:3], exec, s[0:1]
	s_cbranch_execz .LBB6_15
; %bb.14:
	v_madmk_f32 v5, v10, 0x4f800000, v9
	v_rcp_f32_e32 v5, v5
	s_sub_u32 s6, 0, s22
	s_subb_u32 s7, 0, s23
	v_mul_f32_e32 v5, 0x5f7ffffc, v5
	v_mul_f32_e32 v6, 0x2f800000, v5
	v_trunc_f32_e32 v6, v6
	v_madmk_f32 v5, v6, 0xcf800000, v5
	v_cvt_u32_f32_e32 v6, v6
	v_cvt_u32_f32_e32 v5, v5
	v_readfirstlane_b32 s28, v6
	v_readfirstlane_b32 s0, v5
	s_mul_i32 s1, s6, s28
	s_mul_hi_u32 s30, s6, s0
	s_mul_i32 s29, s7, s0
	s_add_i32 s1, s30, s1
	s_add_i32 s1, s1, s29
	s_mul_i32 s31, s6, s0
	s_mul_i32 s30, s0, s1
	s_mul_hi_u32 s33, s0, s31
	s_mul_hi_u32 s29, s0, s1
	s_add_u32 s30, s33, s30
	s_addc_u32 s29, 0, s29
	s_mul_hi_u32 s34, s28, s31
	s_mul_i32 s31, s28, s31
	s_add_u32 s30, s30, s31
	s_mul_hi_u32 s33, s28, s1
	s_addc_u32 s29, s29, s34
	s_addc_u32 s30, s33, 0
	s_mul_i32 s1, s28, s1
	s_add_u32 s1, s29, s1
	s_addc_u32 s29, 0, s30
	s_add_u32 s30, s0, s1
	s_cselect_b64 s[0:1], -1, 0
	s_cmp_lg_u64 s[0:1], 0
	s_addc_u32 s28, s28, s29
	s_mul_i32 s0, s6, s28
	s_mul_hi_u32 s1, s6, s30
	s_add_i32 s0, s1, s0
	s_mul_i32 s7, s7, s30
	s_add_i32 s0, s0, s7
	s_mul_i32 s6, s6, s30
	s_mul_hi_u32 s7, s28, s6
	s_mul_i32 s29, s28, s6
	s_mul_i32 s33, s30, s0
	s_mul_hi_u32 s6, s30, s6
	s_mul_hi_u32 s31, s30, s0
	s_add_u32 s6, s6, s33
	s_addc_u32 s31, 0, s31
	s_add_u32 s6, s6, s29
	s_mul_hi_u32 s1, s28, s0
	s_addc_u32 s6, s31, s7
	s_addc_u32 s1, s1, 0
	s_mul_i32 s0, s28, s0
	s_add_u32 s0, s6, s0
	s_addc_u32 s6, 0, s1
	s_add_u32 s7, s30, s0
	s_cselect_b64 s[0:1], -1, 0
	s_cmp_lg_u64 s[0:1], 0
	s_addc_u32 s6, s28, s6
	v_mad_u64_u32 v[5:6], s[0:1], v0, s6, 0
	v_mul_hi_u32 v7, v0, s7
	v_add_co_u32_e32 v11, vcc, v7, v5
	v_addc_co_u32_e32 v15, vcc, 0, v6, vcc
	v_mad_u64_u32 v[5:6], s[0:1], v1, s7, 0
	v_mad_u64_u32 v[7:8], s[0:1], v1, s6, 0
	v_add_co_u32_e32 v5, vcc, v11, v5
	v_addc_co_u32_e32 v5, vcc, v15, v6, vcc
	v_addc_co_u32_e32 v6, vcc, 0, v8, vcc
	v_add_co_u32_e32 v7, vcc, v5, v7
	v_addc_co_u32_e32 v8, vcc, 0, v6, vcc
	v_mul_lo_u32 v11, s23, v7
	v_mul_lo_u32 v15, s22, v8
	v_mad_u64_u32 v[5:6], s[0:1], s22, v7, 0
	v_add3_u32 v6, v6, v15, v11
	v_sub_u32_e32 v11, v1, v6
	v_mov_b32_e32 v15, s23
	v_sub_co_u32_e32 v5, vcc, v0, v5
	v_subb_co_u32_e64 v11, s[0:1], v11, v15, vcc
	v_subrev_co_u32_e64 v15, s[0:1], s22, v5
	v_subbrev_co_u32_e64 v11, s[0:1], 0, v11, s[0:1]
	v_cmp_le_u32_e64 s[0:1], s23, v11
	v_cndmask_b32_e64 v16, 0, -1, s[0:1]
	v_cmp_le_u32_e64 s[0:1], s22, v15
	v_cndmask_b32_e64 v15, 0, -1, s[0:1]
	v_cmp_eq_u32_e64 s[0:1], s23, v11
	v_cndmask_b32_e64 v11, v16, v15, s[0:1]
	v_add_co_u32_e64 v15, s[0:1], 2, v7
	v_addc_co_u32_e64 v16, s[0:1], 0, v8, s[0:1]
	v_add_co_u32_e64 v17, s[0:1], 1, v7
	v_addc_co_u32_e64 v18, s[0:1], 0, v8, s[0:1]
	v_subb_co_u32_e32 v6, vcc, v1, v6, vcc
	v_cmp_ne_u32_e64 s[0:1], 0, v11
	v_cmp_le_u32_e32 vcc, s23, v6
	v_cndmask_b32_e64 v11, v18, v16, s[0:1]
	v_cndmask_b32_e64 v16, 0, -1, vcc
	v_cmp_le_u32_e32 vcc, s22, v5
	v_cndmask_b32_e64 v5, 0, -1, vcc
	v_cmp_eq_u32_e32 vcc, s23, v6
	v_cndmask_b32_e32 v5, v16, v5, vcc
	v_cmp_ne_u32_e32 vcc, 0, v5
	v_cndmask_b32_e64 v5, v17, v15, s[0:1]
	v_cndmask_b32_e32 v6, v8, v11, vcc
	v_cndmask_b32_e32 v5, v7, v5, vcc
.LBB6_15:
	s_or_saveexec_b64 s[0:1], s[2:3]
	v_cvt_f32_u32_e32 v11, s22
	s_xor_b64 exec, exec, s[0:1]
	s_cbranch_execz .LBB6_17
; %bb.16:
	v_rcp_iflag_f32_e32 v5, v11
	s_sub_i32 s2, 0, s22
	v_mul_f32_e32 v5, 0x4f7ffffe, v5
	v_cvt_u32_f32_e32 v5, v5
	v_mul_lo_u32 v6, s2, v5
	v_mul_hi_u32 v6, v5, v6
	v_add_u32_e32 v5, v5, v6
	v_mul_hi_u32 v5, v0, v5
	v_mul_lo_u32 v6, v5, s22
	v_add_u32_e32 v7, 1, v5
	v_sub_u32_e32 v6, v0, v6
	v_subrev_u32_e32 v8, s22, v6
	v_cmp_le_u32_e32 vcc, s22, v6
	v_cndmask_b32_e32 v6, v6, v8, vcc
	v_cndmask_b32_e32 v5, v5, v7, vcc
	v_add_u32_e32 v7, 1, v5
	v_cmp_le_u32_e32 vcc, s22, v6
	v_cndmask_b32_e32 v5, v5, v7, vcc
	v_mov_b32_e32 v6, 0
.LBB6_17:
	s_or_b64 exec, exec, s[0:1]
	v_or_b32_e32 v8, s25, v6
	v_mov_b32_e32 v7, 0
	v_cmp_ne_u64_e32 vcc, 0, v[7:8]
                                        ; implicit-def: $vgpr7_vgpr8
	s_and_saveexec_b64 s[0:1], vcc
	s_xor_b64 s[2:3], exec, s[0:1]
	s_cbranch_execz .LBB6_19
; %bb.18:
	v_madmk_f32 v7, v13, 0x4f800000, v12
	v_rcp_f32_e32 v7, v7
	s_sub_u32 s6, 0, s24
	s_subb_u32 s7, 0, s25
	v_mul_f32_e32 v7, 0x5f7ffffc, v7
	v_mul_f32_e32 v8, 0x2f800000, v7
	v_trunc_f32_e32 v8, v8
	v_madmk_f32 v7, v8, 0xcf800000, v7
	v_cvt_u32_f32_e32 v8, v8
	v_cvt_u32_f32_e32 v7, v7
	v_readfirstlane_b32 s28, v8
	v_readfirstlane_b32 s0, v7
	s_mul_i32 s1, s6, s28
	s_mul_hi_u32 s30, s6, s0
	s_mul_i32 s29, s7, s0
	s_add_i32 s1, s30, s1
	s_add_i32 s1, s1, s29
	s_mul_i32 s31, s6, s0
	s_mul_i32 s30, s0, s1
	s_mul_hi_u32 s33, s0, s31
	s_mul_hi_u32 s29, s0, s1
	s_add_u32 s30, s33, s30
	s_addc_u32 s29, 0, s29
	s_mul_hi_u32 s34, s28, s31
	s_mul_i32 s31, s28, s31
	s_add_u32 s30, s30, s31
	s_mul_hi_u32 s33, s28, s1
	s_addc_u32 s29, s29, s34
	s_addc_u32 s30, s33, 0
	s_mul_i32 s1, s28, s1
	s_add_u32 s1, s29, s1
	s_addc_u32 s29, 0, s30
	s_add_u32 s30, s0, s1
	s_cselect_b64 s[0:1], -1, 0
	s_cmp_lg_u64 s[0:1], 0
	s_addc_u32 s28, s28, s29
	s_mul_i32 s0, s6, s28
	s_mul_hi_u32 s1, s6, s30
	s_add_i32 s0, s1, s0
	s_mul_i32 s7, s7, s30
	s_add_i32 s0, s0, s7
	s_mul_i32 s6, s6, s30
	s_mul_hi_u32 s7, s28, s6
	s_mul_i32 s29, s28, s6
	s_mul_i32 s33, s30, s0
	s_mul_hi_u32 s6, s30, s6
	s_mul_hi_u32 s31, s30, s0
	s_add_u32 s6, s6, s33
	s_addc_u32 s31, 0, s31
	s_add_u32 s6, s6, s29
	s_mul_hi_u32 s1, s28, s0
	s_addc_u32 s6, s31, s7
	s_addc_u32 s1, s1, 0
	s_mul_i32 s0, s28, s0
	s_add_u32 s0, s6, s0
	s_addc_u32 s6, 0, s1
	s_add_u32 s7, s30, s0
	s_cselect_b64 s[0:1], -1, 0
	s_cmp_lg_u64 s[0:1], 0
	s_addc_u32 s6, s28, s6
	v_mad_u64_u32 v[7:8], s[0:1], v5, s6, 0
	v_mul_hi_u32 v12, v5, s7
	v_add_co_u32_e32 v14, vcc, v12, v7
	v_addc_co_u32_e32 v15, vcc, 0, v8, vcc
	v_mad_u64_u32 v[7:8], s[0:1], v6, s7, 0
	v_mad_u64_u32 v[12:13], s[0:1], v6, s6, 0
	v_add_co_u32_e32 v7, vcc, v14, v7
	v_addc_co_u32_e32 v7, vcc, v15, v8, vcc
	v_addc_co_u32_e32 v8, vcc, 0, v13, vcc
	v_add_co_u32_e32 v12, vcc, v7, v12
	v_addc_co_u32_e32 v13, vcc, 0, v8, vcc
	v_mul_lo_u32 v14, s25, v12
	v_mul_lo_u32 v15, s24, v13
	v_mad_u64_u32 v[7:8], s[0:1], s24, v12, 0
	v_add3_u32 v8, v8, v15, v14
	v_sub_u32_e32 v14, v6, v8
	v_mov_b32_e32 v15, s25
	v_sub_co_u32_e32 v5, vcc, v5, v7
	v_subb_co_u32_e64 v7, s[0:1], v14, v15, vcc
	v_subrev_co_u32_e64 v14, s[0:1], s24, v5
	v_subbrev_co_u32_e64 v7, s[0:1], 0, v7, s[0:1]
	v_cmp_le_u32_e64 s[0:1], s25, v7
	v_cndmask_b32_e64 v15, 0, -1, s[0:1]
	v_cmp_le_u32_e64 s[0:1], s24, v14
	v_cndmask_b32_e64 v14, 0, -1, s[0:1]
	v_cmp_eq_u32_e64 s[0:1], s25, v7
	v_cndmask_b32_e64 v7, v15, v14, s[0:1]
	v_add_co_u32_e64 v14, s[0:1], 2, v12
	v_subb_co_u32_e32 v6, vcc, v6, v8, vcc
	v_addc_co_u32_e64 v15, s[0:1], 0, v13, s[0:1]
	v_cmp_le_u32_e32 vcc, s25, v6
	v_add_co_u32_e64 v16, s[0:1], 1, v12
	v_cndmask_b32_e64 v8, 0, -1, vcc
	v_cmp_le_u32_e32 vcc, s24, v5
	v_addc_co_u32_e64 v17, s[0:1], 0, v13, s[0:1]
	v_cndmask_b32_e64 v5, 0, -1, vcc
	v_cmp_eq_u32_e32 vcc, s25, v6
	v_cmp_ne_u32_e64 s[0:1], 0, v7
	v_cndmask_b32_e32 v5, v8, v5, vcc
	v_cndmask_b32_e64 v7, v17, v15, s[0:1]
	v_cmp_ne_u32_e32 vcc, 0, v5
	v_cndmask_b32_e64 v5, v16, v14, s[0:1]
	v_cndmask_b32_e32 v8, v13, v7, vcc
	v_cndmask_b32_e32 v7, v12, v5, vcc
                                        ; implicit-def: $vgpr14
                                        ; implicit-def: $vgpr5_vgpr6
.LBB6_19:
	s_andn2_saveexec_b64 s[0:1], s[2:3]
	s_cbranch_execz .LBB6_21
; %bb.20:
	v_rcp_iflag_f32_e32 v6, v14
	s_sub_i32 s2, 0, s24
	v_mul_f32_e32 v6, 0x4f7ffffe, v6
	v_cvt_u32_f32_e32 v6, v6
	v_mul_lo_u32 v7, s2, v6
	v_mul_hi_u32 v7, v6, v7
	v_add_u32_e32 v6, v6, v7
	v_mul_hi_u32 v6, v5, v6
	v_mul_lo_u32 v7, v6, s24
	v_add_u32_e32 v8, 1, v6
	v_sub_u32_e32 v5, v5, v7
	v_subrev_u32_e32 v7, s24, v5
	v_cmp_le_u32_e32 vcc, s24, v5
	v_cndmask_b32_e32 v5, v5, v7, vcc
	v_cndmask_b32_e32 v6, v6, v8, vcc
	v_add_u32_e32 v7, 1, v6
	v_cmp_le_u32_e32 vcc, s24, v5
	v_cndmask_b32_e32 v7, v6, v7, vcc
	v_mov_b32_e32 v8, 0
.LBB6_21:
	s_or_b64 exec, exec, s[0:1]
	v_or_b32_e32 v6, s21, v8
	v_mov_b32_e32 v5, 0
	v_cmp_ne_u64_e32 vcc, 0, v[5:6]
                                        ; implicit-def: $vgpr5_vgpr6
	s_and_saveexec_b64 s[0:1], vcc
	s_xor_b64 s[2:3], exec, s[0:1]
	s_cbranch_execz .LBB6_23
; %bb.22:
	v_cvt_f32_u32_e32 v5, s20
	v_cvt_f32_u32_e32 v6, s21
	s_sub_u32 s6, 0, s20
	s_subb_u32 s7, 0, s21
	v_madmk_f32 v5, v6, 0x4f800000, v5
	v_rcp_f32_e32 v5, v5
	v_mul_f32_e32 v5, 0x5f7ffffc, v5
	v_mul_f32_e32 v6, 0x2f800000, v5
	v_trunc_f32_e32 v6, v6
	v_madmk_f32 v5, v6, 0xcf800000, v5
	v_cvt_u32_f32_e32 v6, v6
	v_cvt_u32_f32_e32 v5, v5
	v_readfirstlane_b32 s28, v6
	v_readfirstlane_b32 s0, v5
	s_mul_i32 s1, s6, s28
	s_mul_hi_u32 s30, s6, s0
	s_mul_i32 s29, s7, s0
	s_add_i32 s1, s30, s1
	s_mul_i32 s31, s6, s0
	s_add_i32 s1, s1, s29
	s_mul_i32 s30, s0, s1
	s_mul_hi_u32 s33, s0, s31
	s_mul_hi_u32 s29, s0, s1
	s_add_u32 s30, s33, s30
	s_addc_u32 s29, 0, s29
	s_mul_hi_u32 s34, s28, s31
	s_mul_i32 s31, s28, s31
	s_add_u32 s30, s30, s31
	s_mul_hi_u32 s33, s28, s1
	s_addc_u32 s29, s29, s34
	s_addc_u32 s30, s33, 0
	s_mul_i32 s1, s28, s1
	s_add_u32 s1, s29, s1
	s_addc_u32 s29, 0, s30
	s_add_u32 s30, s0, s1
	s_cselect_b64 s[0:1], -1, 0
	s_cmp_lg_u64 s[0:1], 0
	s_addc_u32 s28, s28, s29
	s_mul_i32 s0, s6, s28
	s_mul_hi_u32 s1, s6, s30
	s_add_i32 s0, s1, s0
	s_mul_i32 s7, s7, s30
	s_add_i32 s0, s0, s7
	s_mul_i32 s6, s6, s30
	s_mul_hi_u32 s7, s28, s6
	s_mul_i32 s29, s28, s6
	s_mul_i32 s33, s30, s0
	s_mul_hi_u32 s6, s30, s6
	s_mul_hi_u32 s31, s30, s0
	s_add_u32 s6, s6, s33
	s_addc_u32 s31, 0, s31
	s_add_u32 s6, s6, s29
	s_mul_hi_u32 s1, s28, s0
	s_addc_u32 s6, s31, s7
	s_addc_u32 s1, s1, 0
	s_mul_i32 s0, s28, s0
	s_add_u32 s0, s6, s0
	s_addc_u32 s6, 0, s1
	s_add_u32 s7, s30, s0
	s_cselect_b64 s[0:1], -1, 0
	s_cmp_lg_u64 s[0:1], 0
	s_addc_u32 s6, s28, s6
	v_mad_u64_u32 v[5:6], s[0:1], v7, s6, 0
	v_mul_hi_u32 v12, v7, s7
	v_add_co_u32_e32 v14, vcc, v12, v5
	v_addc_co_u32_e32 v15, vcc, 0, v6, vcc
	v_mad_u64_u32 v[5:6], s[0:1], v8, s7, 0
	v_mad_u64_u32 v[12:13], s[0:1], v8, s6, 0
	v_add_co_u32_e32 v5, vcc, v14, v5
	v_addc_co_u32_e32 v5, vcc, v15, v6, vcc
	v_addc_co_u32_e32 v6, vcc, 0, v13, vcc
	v_add_co_u32_e32 v5, vcc, v5, v12
	v_addc_co_u32_e32 v6, vcc, 0, v6, vcc
	v_mul_lo_u32 v12, s21, v5
	v_mul_lo_u32 v13, s20, v6
	v_mad_u64_u32 v[5:6], s[0:1], s20, v5, 0
	v_add3_u32 v6, v6, v13, v12
	v_sub_u32_e32 v12, v8, v6
	v_mov_b32_e32 v13, s21
	v_sub_co_u32_e32 v5, vcc, v7, v5
	v_subb_co_u32_e64 v7, s[0:1], v12, v13, vcc
	v_subrev_co_u32_e64 v12, s[0:1], s20, v5
	v_subbrev_co_u32_e64 v7, s[0:1], 0, v7, s[0:1]
	v_cmp_le_u32_e64 s[0:1], s21, v7
	v_subb_co_u32_e32 v6, vcc, v8, v6, vcc
	v_cndmask_b32_e64 v13, 0, -1, s[0:1]
	v_cmp_le_u32_e64 s[0:1], s20, v12
	v_cmp_le_u32_e32 vcc, s21, v6
	v_cndmask_b32_e64 v14, 0, -1, s[0:1]
	v_cmp_eq_u32_e64 s[0:1], s21, v7
	v_cndmask_b32_e64 v8, 0, -1, vcc
	v_cmp_le_u32_e32 vcc, s20, v5
	v_cndmask_b32_e64 v7, v13, v14, s[0:1]
	v_cndmask_b32_e64 v14, 0, -1, vcc
	v_cmp_eq_u32_e32 vcc, s21, v6
	v_subrev_co_u32_e64 v13, s[0:1], s20, v12
	v_cndmask_b32_e32 v6, v8, v14, vcc
	v_cmp_ne_u32_e32 vcc, 0, v7
	v_cndmask_b32_e32 v7, v12, v13, vcc
	v_cmp_ne_u32_e32 vcc, 0, v6
	v_cndmask_b32_e32 v5, v5, v7, vcc
                                        ; implicit-def: $vgpr7_vgpr8
.LBB6_23:
	s_andn2_saveexec_b64 s[0:1], s[2:3]
	s_cbranch_execz .LBB6_25
; %bb.24:
	v_cvt_f32_u32_e32 v5, s20
	s_sub_i32 s2, 0, s20
	v_rcp_iflag_f32_e32 v5, v5
	v_mul_f32_e32 v5, 0x4f7ffffe, v5
	v_cvt_u32_f32_e32 v5, v5
	v_mul_lo_u32 v6, s2, v5
	v_mul_hi_u32 v6, v5, v6
	v_add_u32_e32 v5, v5, v6
	v_mul_hi_u32 v5, v7, v5
	v_mul_lo_u32 v5, v5, s20
	v_sub_u32_e32 v5, v7, v5
	v_subrev_u32_e32 v6, s20, v5
	v_cmp_le_u32_e32 vcc, s20, v5
	v_cndmask_b32_e32 v5, v5, v6, vcc
	v_subrev_u32_e32 v6, s20, v5
	v_cmp_le_u32_e32 vcc, s20, v5
	v_cndmask_b32_e32 v5, v5, v6, vcc
.LBB6_25:
	s_or_b64 exec, exec, s[0:1]
	v_or_b32_e32 v7, s23, v4
	v_mov_b32_e32 v6, 0
	v_cmp_ne_u64_e32 vcc, 0, v[6:7]
                                        ; implicit-def: $vgpr6_vgpr7
	s_and_saveexec_b64 s[0:1], vcc
	s_xor_b64 s[2:3], exec, s[0:1]
	s_cbranch_execz .LBB6_27
; %bb.26:
	v_madmk_f32 v6, v10, 0x4f800000, v9
	v_rcp_f32_e32 v6, v6
	s_sub_u32 s6, 0, s22
	s_subb_u32 s7, 0, s23
	v_mul_f32_e32 v6, 0x5f7ffffc, v6
	v_mul_f32_e32 v7, 0x2f800000, v6
	v_trunc_f32_e32 v7, v7
	v_madmk_f32 v6, v7, 0xcf800000, v6
	v_cvt_u32_f32_e32 v7, v7
	v_cvt_u32_f32_e32 v6, v6
	v_readfirstlane_b32 s28, v7
	v_readfirstlane_b32 s0, v6
	s_mul_i32 s1, s6, s28
	s_mul_hi_u32 s30, s6, s0
	s_mul_i32 s29, s7, s0
	s_add_i32 s1, s30, s1
	s_add_i32 s1, s1, s29
	s_mul_i32 s31, s6, s0
	s_mul_i32 s30, s0, s1
	s_mul_hi_u32 s33, s0, s31
	s_mul_hi_u32 s29, s0, s1
	s_add_u32 s30, s33, s30
	s_addc_u32 s29, 0, s29
	s_mul_hi_u32 s34, s28, s31
	s_mul_i32 s31, s28, s31
	s_add_u32 s30, s30, s31
	s_mul_hi_u32 s33, s28, s1
	s_addc_u32 s29, s29, s34
	s_addc_u32 s30, s33, 0
	s_mul_i32 s1, s28, s1
	s_add_u32 s1, s29, s1
	s_addc_u32 s29, 0, s30
	s_add_u32 s30, s0, s1
	s_cselect_b64 s[0:1], -1, 0
	s_cmp_lg_u64 s[0:1], 0
	s_addc_u32 s28, s28, s29
	s_mul_i32 s0, s6, s28
	s_mul_hi_u32 s1, s6, s30
	s_add_i32 s0, s1, s0
	s_mul_i32 s7, s7, s30
	s_add_i32 s0, s0, s7
	s_mul_i32 s6, s6, s30
	s_mul_hi_u32 s7, s28, s6
	s_mul_i32 s29, s28, s6
	s_mul_i32 s33, s30, s0
	s_mul_hi_u32 s6, s30, s6
	s_mul_hi_u32 s31, s30, s0
	s_add_u32 s6, s6, s33
	s_addc_u32 s31, 0, s31
	s_add_u32 s6, s6, s29
	s_mul_hi_u32 s1, s28, s0
	s_addc_u32 s6, s31, s7
	s_addc_u32 s1, s1, 0
	s_mul_i32 s0, s28, s0
	s_add_u32 s0, s6, s0
	s_addc_u32 s6, 0, s1
	s_add_u32 s7, s30, s0
	s_cselect_b64 s[0:1], -1, 0
	s_cmp_lg_u64 s[0:1], 0
	s_addc_u32 s6, s28, s6
	v_mad_u64_u32 v[6:7], s[0:1], v3, s6, 0
	v_mul_hi_u32 v8, v3, s7
	v_add_co_u32_e32 v10, vcc, v8, v6
	v_addc_co_u32_e32 v11, vcc, 0, v7, vcc
	v_mad_u64_u32 v[6:7], s[0:1], v4, s7, 0
	v_mad_u64_u32 v[8:9], s[0:1], v4, s6, 0
	v_add_co_u32_e32 v6, vcc, v10, v6
	v_addc_co_u32_e32 v6, vcc, v11, v7, vcc
	v_addc_co_u32_e32 v7, vcc, 0, v9, vcc
	v_add_co_u32_e32 v6, vcc, v6, v8
	v_addc_co_u32_e32 v7, vcc, 0, v7, vcc
	v_mul_lo_u32 v8, s23, v6
	v_mul_lo_u32 v9, s22, v7
	v_mad_u64_u32 v[6:7], s[0:1], s22, v6, 0
	v_add3_u32 v7, v7, v9, v8
	v_sub_u32_e32 v8, v4, v7
	v_mov_b32_e32 v9, s23
	v_sub_co_u32_e32 v6, vcc, v3, v6
	v_subb_co_u32_e64 v8, s[0:1], v8, v9, vcc
	v_subrev_co_u32_e64 v9, s[0:1], s22, v6
	v_subbrev_co_u32_e64 v8, s[0:1], 0, v8, s[0:1]
	v_cmp_le_u32_e64 s[0:1], s23, v8
	v_subb_co_u32_e32 v4, vcc, v4, v7, vcc
	v_cndmask_b32_e64 v10, 0, -1, s[0:1]
	v_cmp_le_u32_e64 s[0:1], s22, v9
	v_cmp_le_u32_e32 vcc, s23, v4
	v_cndmask_b32_e64 v11, 0, -1, s[0:1]
	v_cmp_eq_u32_e64 s[0:1], s23, v8
	v_cndmask_b32_e64 v7, 0, -1, vcc
	v_cmp_le_u32_e32 vcc, s22, v6
	v_cndmask_b32_e64 v8, v10, v11, s[0:1]
	v_cndmask_b32_e64 v11, 0, -1, vcc
	v_cmp_eq_u32_e32 vcc, s23, v4
	v_subrev_co_u32_e64 v10, s[0:1], s22, v9
	v_cndmask_b32_e32 v4, v7, v11, vcc
	v_cmp_ne_u32_e32 vcc, 0, v8
	v_cndmask_b32_e32 v7, v9, v10, vcc
	v_cmp_ne_u32_e32 vcc, 0, v4
	v_cndmask_b32_e32 v6, v6, v7, vcc
                                        ; implicit-def: $vgpr11
.LBB6_27:
	s_andn2_saveexec_b64 s[0:1], s[2:3]
	s_cbranch_execz .LBB6_29
; %bb.28:
	v_rcp_iflag_f32_e32 v4, v11
	s_sub_i32 s2, 0, s22
	v_mul_f32_e32 v4, 0x4f7ffffe, v4
	v_cvt_u32_f32_e32 v4, v4
	v_mul_lo_u32 v6, s2, v4
	v_mul_hi_u32 v6, v4, v6
	v_add_u32_e32 v4, v4, v6
	v_mul_hi_u32 v4, v3, v4
	v_mul_lo_u32 v4, v4, s22
	v_sub_u32_e32 v4, v3, v4
	v_subrev_u32_e32 v6, s22, v4
	v_cmp_le_u32_e32 vcc, s22, v4
	v_cndmask_b32_e32 v4, v4, v6, vcc
	v_subrev_u32_e32 v6, s22, v4
	v_cmp_le_u32_e32 vcc, s22, v4
	v_cndmask_b32_e32 v6, v4, v6, vcc
.LBB6_29:
	s_or_b64 exec, exec, s[0:1]
	s_load_dwordx4 s[0:3], s[4:5], 0x50
	v_cvt_f32_i32_e32 v4, v5
	v_mul_lo_u32 v3, v3, s24
	v_cvt_f32_i32_e32 v6, v6
	s_waitcnt lgkmcnt(0)
	s_add_i32 s3, s14, -1
	v_add_f32_e32 v4, 0.5, v4
	v_sub_u32_e32 v3, v0, v3
	v_mul_f32_e32 v4, s0, v4
	v_cvt_f32_i32_e32 v3, v3
	v_floor_f32_e32 v4, v4
	v_cvt_i32_f32_e32 v4, v4
	s_mul_i32 s0, s18, s17
	v_add_f32_e32 v3, 0.5, v3
	s_mul_hi_u32 s4, s18, s16
	v_mul_f32_e32 v3, s2, v3
	s_add_i32 s0, s4, s0
	v_min_i32_e32 v7, s3, v4
	s_mul_i32 s3, s19, s16
	v_floor_f32_e32 v3, v3
	s_add_i32 s0, s0, s3
	s_mul_i32 s3, s18, s16
	v_cvt_i32_f32_e32 v3, v3
	s_mul_i32 s4, s3, s15
	s_mul_hi_u32 s5, s3, s14
	v_add_f32_e32 v6, 0.5, v6
	s_add_i32 s4, s5, s4
	s_mul_i32 s0, s0, s14
	v_mul_f32_e32 v6, s1, v6
	s_add_i32 s4, s4, s0
	s_add_i32 s0, s18, -1
	v_floor_f32_e32 v6, v6
	v_min_i32_e32 v3, s0, v3
	v_cvt_i32_f32_e32 v6, v6
	s_mul_i32 s2, s3, s14
	v_ashrrev_i32_e32 v4, 31, v3
	v_ashrrev_i32_e32 v5, 31, v2
	v_mul_lo_u32 v9, v2, s4
	v_mad_u64_u32 v[2:3], s[0:1], v2, s2, v[3:4]
	s_add_i32 s0, s16, -1
	v_min_i32_e32 v4, s0, v6
	v_mul_lo_u32 v10, v5, s2
	v_ashrrev_i32_e32 v5, 31, v4
	v_mad_u64_u32 v[4:5], s[0:1], s16, v7, v[4:5]
	v_add3_u32 v3, v10, v3, v9
	v_ashrrev_i32_e32 v8, 31, v7
	v_mad_u64_u32 v[2:3], s[0:1], v4, s18, v[2:3]
	s_mul_i32 s0, s2, s13
	s_mul_hi_u32 s1, s2, s12
	s_mul_i32 s4, s4, s12
	s_add_i32 s0, s1, s0
	v_mul_lo_u32 v6, s16, v8
	v_mul_lo_u32 v7, s17, v7
	s_add_i32 s7, s0, s4
	s_mul_i32 s0, s24, s23
	s_mul_hi_u32 s1, s24, s22
	s_add_i32 s0, s1, s0
	s_mul_i32 s1, s25, s22
	s_add_i32 s0, s0, s1
	s_mul_i32 s1, s24, s22
	s_mul_i32 s6, s2, s12
	;; [unrolled: 1-line block ×3, first 2 shown]
	s_mul_hi_u32 s3, s1, s20
	v_add3_u32 v5, v7, v5, v6
	s_add_i32 s2, s3, s2
	s_mul_i32 s0, s0, s20
	v_mul_lo_u32 v5, v5, s18
	v_mul_lo_u32 v4, v4, s19
	s_add_i32 s0, s2, s0
	s_mul_i32 s2, s1, s20
	s_mul_i32 s1, s2, s13
	s_mul_hi_u32 s3, s2, s12
	v_lshlrev_b64 v[0:1], 2, v[0:1]
	s_mul_i32 s0, s0, s12
	s_add_i32 s1, s3, s1
	s_add_i32 s1, s1, s0
	s_mul_i32 s0, s2, s12
	v_add3_u32 v3, v5, v3, v4
	v_mov_b32_e32 v4, s27
	v_add_co_u32_e32 v0, vcc, s26, v0
	s_lshl_b64 s[2:3], s[0:1], 2
	v_addc_co_u32_e32 v1, vcc, v4, v1, vcc
	s_mov_b64 s[4:5], 0
	v_mov_b32_e32 v4, s9
	v_mov_b32_e32 v5, s7
	;; [unrolled: 1-line block ×3, first 2 shown]
.LBB6_30:                               ; =>This Inner Loop Header: Depth=1
	v_lshlrev_b64 v[7:8], 2, v[2:3]
	s_add_u32 s4, s4, 1
	v_add_co_u32_e32 v7, vcc, s8, v7
	v_addc_co_u32_e32 v8, vcc, v4, v8, vcc
	global_load_dword v9, v[7:8], off
	s_addc_u32 s5, s5, 0
	v_add_co_u32_e32 v2, vcc, s6, v2
	v_mov_b32_e32 v8, s5
	v_addc_co_u32_e32 v3, vcc, v3, v5, vcc
	v_mov_b32_e32 v7, s4
	v_cmp_gt_u64_e32 vcc, s[10:11], v[7:8]
	s_and_b64 vcc, exec, vcc
	s_waitcnt vmcnt(0)
	global_store_dword v[0:1], v9, off
	v_add_co_u32_e64 v0, s[0:1], s2, v0
	v_addc_co_u32_e64 v1, s[0:1], v1, v6, s[0:1]
	s_cbranch_vccnz .LBB6_30
.LBB6_31:
	s_endpgm
	.section	.rodata,"a",@progbits
	.p2align	6, 0x0
	.amdhsa_kernel _ZN2at6native12_GLOBAL__N_128upsample_nearest3d_out_frameIfXadL_ZNS0_43nearest_neighbor_exact_compute_source_indexEfiiEEEEvPKT_mmmmmmmmPS3_fff
		.amdhsa_group_segment_fixed_size 0
		.amdhsa_private_segment_fixed_size 0
		.amdhsa_kernarg_size 352
		.amdhsa_user_sgpr_count 6
		.amdhsa_user_sgpr_private_segment_buffer 1
		.amdhsa_user_sgpr_dispatch_ptr 0
		.amdhsa_user_sgpr_queue_ptr 0
		.amdhsa_user_sgpr_kernarg_segment_ptr 1
		.amdhsa_user_sgpr_dispatch_id 0
		.amdhsa_user_sgpr_flat_scratch_init 0
		.amdhsa_user_sgpr_private_segment_size 0
		.amdhsa_uses_dynamic_stack 0
		.amdhsa_system_sgpr_private_segment_wavefront_offset 0
		.amdhsa_system_sgpr_workgroup_id_x 1
		.amdhsa_system_sgpr_workgroup_id_y 0
		.amdhsa_system_sgpr_workgroup_id_z 0
		.amdhsa_system_sgpr_workgroup_info 0
		.amdhsa_system_vgpr_workitem_id 0
		.amdhsa_next_free_vgpr 19
		.amdhsa_next_free_sgpr 39
		.amdhsa_reserve_vcc 1
		.amdhsa_reserve_flat_scratch 0
		.amdhsa_float_round_mode_32 0
		.amdhsa_float_round_mode_16_64 0
		.amdhsa_float_denorm_mode_32 3
		.amdhsa_float_denorm_mode_16_64 3
		.amdhsa_dx10_clamp 1
		.amdhsa_ieee_mode 1
		.amdhsa_fp16_overflow 0
		.amdhsa_exception_fp_ieee_invalid_op 0
		.amdhsa_exception_fp_denorm_src 0
		.amdhsa_exception_fp_ieee_div_zero 0
		.amdhsa_exception_fp_ieee_overflow 0
		.amdhsa_exception_fp_ieee_underflow 0
		.amdhsa_exception_fp_ieee_inexact 0
		.amdhsa_exception_int_div_zero 0
	.end_amdhsa_kernel
	.section	.text._ZN2at6native12_GLOBAL__N_128upsample_nearest3d_out_frameIfXadL_ZNS0_43nearest_neighbor_exact_compute_source_indexEfiiEEEEvPKT_mmmmmmmmPS3_fff,"axG",@progbits,_ZN2at6native12_GLOBAL__N_128upsample_nearest3d_out_frameIfXadL_ZNS0_43nearest_neighbor_exact_compute_source_indexEfiiEEEEvPKT_mmmmmmmmPS3_fff,comdat
.Lfunc_end6:
	.size	_ZN2at6native12_GLOBAL__N_128upsample_nearest3d_out_frameIfXadL_ZNS0_43nearest_neighbor_exact_compute_source_indexEfiiEEEEvPKT_mmmmmmmmPS3_fff, .Lfunc_end6-_ZN2at6native12_GLOBAL__N_128upsample_nearest3d_out_frameIfXadL_ZNS0_43nearest_neighbor_exact_compute_source_indexEfiiEEEEvPKT_mmmmmmmmPS3_fff
                                        ; -- End function
	.set _ZN2at6native12_GLOBAL__N_128upsample_nearest3d_out_frameIfXadL_ZNS0_43nearest_neighbor_exact_compute_source_indexEfiiEEEEvPKT_mmmmmmmmPS3_fff.num_vgpr, 19
	.set _ZN2at6native12_GLOBAL__N_128upsample_nearest3d_out_frameIfXadL_ZNS0_43nearest_neighbor_exact_compute_source_indexEfiiEEEEvPKT_mmmmmmmmPS3_fff.num_agpr, 0
	.set _ZN2at6native12_GLOBAL__N_128upsample_nearest3d_out_frameIfXadL_ZNS0_43nearest_neighbor_exact_compute_source_indexEfiiEEEEvPKT_mmmmmmmmPS3_fff.numbered_sgpr, 39
	.set _ZN2at6native12_GLOBAL__N_128upsample_nearest3d_out_frameIfXadL_ZNS0_43nearest_neighbor_exact_compute_source_indexEfiiEEEEvPKT_mmmmmmmmPS3_fff.num_named_barrier, 0
	.set _ZN2at6native12_GLOBAL__N_128upsample_nearest3d_out_frameIfXadL_ZNS0_43nearest_neighbor_exact_compute_source_indexEfiiEEEEvPKT_mmmmmmmmPS3_fff.private_seg_size, 0
	.set _ZN2at6native12_GLOBAL__N_128upsample_nearest3d_out_frameIfXadL_ZNS0_43nearest_neighbor_exact_compute_source_indexEfiiEEEEvPKT_mmmmmmmmPS3_fff.uses_vcc, 1
	.set _ZN2at6native12_GLOBAL__N_128upsample_nearest3d_out_frameIfXadL_ZNS0_43nearest_neighbor_exact_compute_source_indexEfiiEEEEvPKT_mmmmmmmmPS3_fff.uses_flat_scratch, 0
	.set _ZN2at6native12_GLOBAL__N_128upsample_nearest3d_out_frameIfXadL_ZNS0_43nearest_neighbor_exact_compute_source_indexEfiiEEEEvPKT_mmmmmmmmPS3_fff.has_dyn_sized_stack, 0
	.set _ZN2at6native12_GLOBAL__N_128upsample_nearest3d_out_frameIfXadL_ZNS0_43nearest_neighbor_exact_compute_source_indexEfiiEEEEvPKT_mmmmmmmmPS3_fff.has_recursion, 0
	.set _ZN2at6native12_GLOBAL__N_128upsample_nearest3d_out_frameIfXadL_ZNS0_43nearest_neighbor_exact_compute_source_indexEfiiEEEEvPKT_mmmmmmmmPS3_fff.has_indirect_call, 0
	.section	.AMDGPU.csdata,"",@progbits
; Kernel info:
; codeLenInByte = 5360
; TotalNumSgprs: 43
; NumVgprs: 19
; ScratchSize: 0
; MemoryBound: 0
; FloatMode: 240
; IeeeMode: 1
; LDSByteSize: 0 bytes/workgroup (compile time only)
; SGPRBlocks: 5
; VGPRBlocks: 4
; NumSGPRsForWavesPerEU: 43
; NumVGPRsForWavesPerEU: 19
; Occupancy: 10
; WaveLimiterHint : 0
; COMPUTE_PGM_RSRC2:SCRATCH_EN: 0
; COMPUTE_PGM_RSRC2:USER_SGPR: 6
; COMPUTE_PGM_RSRC2:TRAP_HANDLER: 0
; COMPUTE_PGM_RSRC2:TGID_X_EN: 1
; COMPUTE_PGM_RSRC2:TGID_Y_EN: 0
; COMPUTE_PGM_RSRC2:TGID_Z_EN: 0
; COMPUTE_PGM_RSRC2:TIDIG_COMP_CNT: 0
	.section	.text._ZN2at6native12_GLOBAL__N_128upsample_nearest3d_out_frameIN3c104HalfEXadL_ZNS0_43nearest_neighbor_exact_compute_source_indexEfiiEEEEvPKT_mmmmmmmmPS5_fff,"axG",@progbits,_ZN2at6native12_GLOBAL__N_128upsample_nearest3d_out_frameIN3c104HalfEXadL_ZNS0_43nearest_neighbor_exact_compute_source_indexEfiiEEEEvPKT_mmmmmmmmPS5_fff,comdat
	.globl	_ZN2at6native12_GLOBAL__N_128upsample_nearest3d_out_frameIN3c104HalfEXadL_ZNS0_43nearest_neighbor_exact_compute_source_indexEfiiEEEEvPKT_mmmmmmmmPS5_fff ; -- Begin function _ZN2at6native12_GLOBAL__N_128upsample_nearest3d_out_frameIN3c104HalfEXadL_ZNS0_43nearest_neighbor_exact_compute_source_indexEfiiEEEEvPKT_mmmmmmmmPS5_fff
	.p2align	8
	.type	_ZN2at6native12_GLOBAL__N_128upsample_nearest3d_out_frameIN3c104HalfEXadL_ZNS0_43nearest_neighbor_exact_compute_source_indexEfiiEEEEvPKT_mmmmmmmmPS5_fff,@function
_ZN2at6native12_GLOBAL__N_128upsample_nearest3d_out_frameIN3c104HalfEXadL_ZNS0_43nearest_neighbor_exact_compute_source_indexEfiiEEEEvPKT_mmmmmmmmPS5_fff: ; @_ZN2at6native12_GLOBAL__N_128upsample_nearest3d_out_frameIN3c104HalfEXadL_ZNS0_43nearest_neighbor_exact_compute_source_indexEfiiEEEEvPKT_mmmmmmmmPS5_fff
; %bb.0:
	s_load_dword s0, s[4:5], 0x6c
	s_load_dwordx4 s[24:27], s[4:5], 0x40
	s_load_dwordx16 s[8:23], s[4:5], 0x0
	v_mov_b32_e32 v2, 0
	v_mov_b32_e32 v1, v2
	s_waitcnt lgkmcnt(0)
	s_and_b32 s0, s0, 0xffff
	v_mov_b32_e32 v3, s6
	v_mad_u64_u32 v[0:1], s[0:1], s0, v3, v[0:1]
	s_mul_i32 s0, s22, s21
	s_mul_hi_u32 s1, s22, s20
	s_add_i32 s1, s1, s0
	s_mul_i32 s0, s23, s20
	s_add_i32 s1, s1, s0
	s_mul_i32 s0, s22, s20
	s_mul_i32 s2, s0, s13
	s_mul_hi_u32 s3, s0, s12
	s_add_i32 s2, s3, s2
	s_mul_i32 s3, s1, s12
	s_mul_i32 s6, s0, s12
	s_add_i32 s2, s2, s3
	s_mul_i32 s3, s6, s25
	s_mul_hi_u32 s7, s6, s24
	s_mul_i32 s2, s2, s24
	s_add_i32 s3, s7, s3
	s_add_i32 s3, s3, s2
	s_mul_i32 s2, s6, s24
	v_cmp_gt_u64_e32 vcc, s[2:3], v[0:1]
	s_cmp_lg_u64 s[10:11], 0
	s_cselect_b64 s[2:3], -1, 0
	s_and_b64 s[2:3], vcc, s[2:3]
	s_and_saveexec_b64 s[6:7], s[2:3]
	s_cbranch_execz .LBB7_31
; %bb.1:
	s_mul_i32 s2, s0, s25
	s_mul_hi_u32 s3, s0, s24
	s_add_i32 s2, s3, s2
	s_mul_i32 s1, s1, s24
	s_add_i32 s1, s2, s1
	v_or_b32_e32 v3, s1, v1
	v_cmp_ne_u64_e32 vcc, 0, v[2:3]
	s_mul_i32 s30, s0, s24
                                        ; implicit-def: $vgpr4_vgpr5
	s_and_saveexec_b64 s[2:3], vcc
	s_xor_b64 s[2:3], exec, s[2:3]
	s_cbranch_execz .LBB7_3
; %bb.2:
	s_ashr_i32 s6, s1, 31
	s_add_u32 s0, s30, s6
	s_mov_b32 s7, s6
	s_addc_u32 s1, s1, s6
	s_xor_b64 s[28:29], s[0:1], s[6:7]
	v_cvt_f32_u32_e32 v2, s28
	v_cvt_f32_u32_e32 v3, s29
	s_sub_u32 s7, 0, s28
	s_subb_u32 s31, 0, s29
	v_ashrrev_i32_e32 v6, 31, v1
	v_madmk_f32 v2, v3, 0x4f800000, v2
	v_rcp_f32_e32 v2, v2
	v_mul_f32_e32 v2, 0x5f7ffffc, v2
	v_mul_f32_e32 v3, 0x2f800000, v2
	v_trunc_f32_e32 v3, v3
	v_madmk_f32 v2, v3, 0xcf800000, v2
	v_cvt_u32_f32_e32 v3, v3
	v_cvt_u32_f32_e32 v2, v2
	v_readfirstlane_b32 s33, v3
	v_readfirstlane_b32 s0, v2
	s_mul_i32 s1, s7, s33
	s_mul_hi_u32 s35, s7, s0
	s_mul_i32 s34, s31, s0
	s_add_i32 s1, s35, s1
	s_add_i32 s1, s1, s34
	s_mul_i32 s36, s7, s0
	s_mul_i32 s35, s0, s1
	s_mul_hi_u32 s37, s0, s36
	s_mul_hi_u32 s34, s0, s1
	s_add_u32 s35, s37, s35
	s_addc_u32 s34, 0, s34
	s_mul_hi_u32 s38, s33, s36
	s_mul_i32 s36, s33, s36
	s_add_u32 s35, s35, s36
	s_mul_hi_u32 s37, s33, s1
	s_addc_u32 s34, s34, s38
	s_addc_u32 s35, s37, 0
	s_mul_i32 s1, s33, s1
	s_add_u32 s1, s34, s1
	s_addc_u32 s34, 0, s35
	s_add_u32 s35, s0, s1
	s_cselect_b64 s[0:1], -1, 0
	s_cmp_lg_u64 s[0:1], 0
	s_addc_u32 s33, s33, s34
	s_mul_i32 s0, s7, s33
	s_mul_hi_u32 s1, s7, s35
	s_add_i32 s0, s1, s0
	s_mul_i32 s31, s31, s35
	s_add_i32 s0, s0, s31
	s_mul_i32 s7, s7, s35
	s_mul_hi_u32 s31, s33, s7
	s_mul_i32 s34, s33, s7
	s_mul_i32 s37, s35, s0
	s_mul_hi_u32 s7, s35, s7
	s_mul_hi_u32 s36, s35, s0
	s_add_u32 s7, s7, s37
	s_addc_u32 s36, 0, s36
	s_add_u32 s7, s7, s34
	s_mul_hi_u32 s1, s33, s0
	s_addc_u32 s7, s36, s31
	s_addc_u32 s1, s1, 0
	s_mul_i32 s0, s33, s0
	s_add_u32 s0, s7, s0
	s_addc_u32 s7, 0, s1
	s_add_u32 s31, s35, s0
	s_cselect_b64 s[0:1], -1, 0
	s_cmp_lg_u64 s[0:1], 0
	v_add_co_u32_e32 v2, vcc, v0, v6
	s_addc_u32 s7, s33, s7
	v_xor_b32_e32 v7, v2, v6
	v_mad_u64_u32 v[2:3], s[0:1], v7, s7, 0
	v_mul_hi_u32 v5, v7, s31
	v_addc_co_u32_e32 v4, vcc, v1, v6, vcc
	v_xor_b32_e32 v8, v4, v6
	v_add_co_u32_e32 v9, vcc, v5, v2
	v_addc_co_u32_e32 v10, vcc, 0, v3, vcc
	v_mad_u64_u32 v[2:3], s[0:1], v8, s31, 0
	v_mad_u64_u32 v[4:5], s[0:1], v8, s7, 0
	v_add_co_u32_e32 v2, vcc, v9, v2
	v_addc_co_u32_e32 v2, vcc, v10, v3, vcc
	v_addc_co_u32_e32 v3, vcc, 0, v5, vcc
	v_add_co_u32_e32 v4, vcc, v2, v4
	v_addc_co_u32_e32 v5, vcc, 0, v3, vcc
	v_mul_lo_u32 v9, s29, v4
	v_mul_lo_u32 v10, s28, v5
	v_mad_u64_u32 v[2:3], s[0:1], s28, v4, 0
	v_add3_u32 v3, v3, v10, v9
	v_sub_u32_e32 v9, v8, v3
	v_mov_b32_e32 v10, s29
	v_sub_co_u32_e32 v2, vcc, v7, v2
	v_subb_co_u32_e64 v7, s[0:1], v9, v10, vcc
	v_subrev_co_u32_e64 v9, s[0:1], s28, v2
	v_subbrev_co_u32_e64 v7, s[0:1], 0, v7, s[0:1]
	v_cmp_le_u32_e64 s[0:1], s29, v7
	v_cndmask_b32_e64 v10, 0, -1, s[0:1]
	v_cmp_le_u32_e64 s[0:1], s28, v9
	v_cndmask_b32_e64 v9, 0, -1, s[0:1]
	v_cmp_eq_u32_e64 s[0:1], s29, v7
	v_cndmask_b32_e64 v7, v10, v9, s[0:1]
	v_add_co_u32_e64 v9, s[0:1], 2, v4
	v_subb_co_u32_e32 v3, vcc, v8, v3, vcc
	v_addc_co_u32_e64 v10, s[0:1], 0, v5, s[0:1]
	v_cmp_le_u32_e32 vcc, s29, v3
	v_add_co_u32_e64 v11, s[0:1], 1, v4
	v_cndmask_b32_e64 v8, 0, -1, vcc
	v_cmp_le_u32_e32 vcc, s28, v2
	v_addc_co_u32_e64 v12, s[0:1], 0, v5, s[0:1]
	v_cndmask_b32_e64 v2, 0, -1, vcc
	v_cmp_eq_u32_e32 vcc, s29, v3
	v_cmp_ne_u32_e64 s[0:1], 0, v7
	v_cndmask_b32_e32 v2, v8, v2, vcc
	v_cndmask_b32_e64 v7, v12, v10, s[0:1]
	v_cmp_ne_u32_e32 vcc, 0, v2
	v_cndmask_b32_e64 v3, v11, v9, s[0:1]
	v_cndmask_b32_e32 v2, v5, v7, vcc
	v_cndmask_b32_e32 v3, v4, v3, vcc
	v_xor_b32_e32 v5, s6, v6
	v_xor_b32_e32 v3, v3, v5
	;; [unrolled: 1-line block ×3, first 2 shown]
	v_sub_co_u32_e32 v4, vcc, v3, v5
	v_subb_co_u32_e32 v5, vcc, v2, v5, vcc
.LBB7_3:
	s_andn2_saveexec_b64 s[0:1], s[2:3]
	s_cbranch_execz .LBB7_5
; %bb.4:
	v_cvt_f32_u32_e32 v2, s30
	s_sub_i32 s2, 0, s30
	v_rcp_iflag_f32_e32 v2, v2
	v_mul_f32_e32 v2, 0x4f7ffffe, v2
	v_cvt_u32_f32_e32 v2, v2
	v_mul_lo_u32 v3, s2, v2
	v_mul_hi_u32 v3, v2, v3
	v_add_u32_e32 v2, v2, v3
	v_mul_hi_u32 v2, v0, v2
	v_mul_lo_u32 v3, v2, s30
	v_add_u32_e32 v4, 1, v2
	v_sub_u32_e32 v3, v0, v3
	v_subrev_u32_e32 v5, s30, v3
	v_cmp_le_u32_e32 vcc, s30, v3
	v_cndmask_b32_e32 v3, v3, v5, vcc
	v_cndmask_b32_e32 v2, v2, v4, vcc
	v_add_u32_e32 v4, 1, v2
	v_cmp_le_u32_e32 vcc, s30, v3
	v_cndmask_b32_e32 v4, v2, v4, vcc
	v_mov_b32_e32 v5, 0
.LBB7_5:
	s_or_b64 exec, exec, s[0:1]
	v_or_b32_e32 v3, s13, v5
	v_mov_b32_e32 v2, 0
	v_cmp_ne_u64_e32 vcc, 0, v[2:3]
                                        ; implicit-def: $vgpr2_vgpr3
	s_and_saveexec_b64 s[0:1], vcc
	s_xor_b64 s[2:3], exec, s[0:1]
	s_cbranch_execz .LBB7_7
; %bb.6:
	v_cvt_f32_u32_e32 v2, s12
	v_cvt_f32_u32_e32 v3, s13
	s_sub_u32 s6, 0, s12
	s_subb_u32 s7, 0, s13
	v_madmk_f32 v2, v3, 0x4f800000, v2
	v_rcp_f32_e32 v2, v2
	v_mul_f32_e32 v2, 0x5f7ffffc, v2
	v_mul_f32_e32 v3, 0x2f800000, v2
	v_trunc_f32_e32 v3, v3
	v_madmk_f32 v2, v3, 0xcf800000, v2
	v_cvt_u32_f32_e32 v3, v3
	v_cvt_u32_f32_e32 v2, v2
	v_readfirstlane_b32 s28, v3
	v_readfirstlane_b32 s0, v2
	s_mul_i32 s1, s6, s28
	s_mul_hi_u32 s30, s6, s0
	s_mul_i32 s29, s7, s0
	s_add_i32 s1, s30, s1
	s_mul_i32 s31, s6, s0
	s_add_i32 s1, s1, s29
	s_mul_i32 s30, s0, s1
	s_mul_hi_u32 s33, s0, s31
	s_mul_hi_u32 s29, s0, s1
	s_add_u32 s30, s33, s30
	s_addc_u32 s29, 0, s29
	s_mul_hi_u32 s34, s28, s31
	s_mul_i32 s31, s28, s31
	s_add_u32 s30, s30, s31
	s_mul_hi_u32 s33, s28, s1
	s_addc_u32 s29, s29, s34
	s_addc_u32 s30, s33, 0
	s_mul_i32 s1, s28, s1
	s_add_u32 s1, s29, s1
	s_addc_u32 s29, 0, s30
	s_add_u32 s30, s0, s1
	s_cselect_b64 s[0:1], -1, 0
	s_cmp_lg_u64 s[0:1], 0
	s_addc_u32 s28, s28, s29
	s_mul_i32 s0, s6, s28
	s_mul_hi_u32 s1, s6, s30
	s_add_i32 s0, s1, s0
	s_mul_i32 s7, s7, s30
	s_add_i32 s0, s0, s7
	s_mul_i32 s6, s6, s30
	s_mul_hi_u32 s7, s28, s6
	s_mul_i32 s29, s28, s6
	s_mul_i32 s33, s30, s0
	s_mul_hi_u32 s6, s30, s6
	s_mul_hi_u32 s31, s30, s0
	s_add_u32 s6, s6, s33
	s_addc_u32 s31, 0, s31
	s_add_u32 s6, s6, s29
	s_mul_hi_u32 s1, s28, s0
	s_addc_u32 s6, s31, s7
	s_addc_u32 s1, s1, 0
	s_mul_i32 s0, s28, s0
	s_add_u32 s0, s6, s0
	s_addc_u32 s6, 0, s1
	s_add_u32 s7, s30, s0
	s_cselect_b64 s[0:1], -1, 0
	s_cmp_lg_u64 s[0:1], 0
	s_addc_u32 s6, s28, s6
	v_mad_u64_u32 v[2:3], s[0:1], v4, s6, 0
	v_mul_hi_u32 v6, v4, s7
	v_add_co_u32_e32 v8, vcc, v6, v2
	v_addc_co_u32_e32 v9, vcc, 0, v3, vcc
	v_mad_u64_u32 v[2:3], s[0:1], v5, s7, 0
	v_mad_u64_u32 v[6:7], s[0:1], v5, s6, 0
	v_add_co_u32_e32 v2, vcc, v8, v2
	v_addc_co_u32_e32 v2, vcc, v9, v3, vcc
	v_addc_co_u32_e32 v3, vcc, 0, v7, vcc
	v_add_co_u32_e32 v2, vcc, v2, v6
	v_addc_co_u32_e32 v3, vcc, 0, v3, vcc
	v_mul_lo_u32 v6, s13, v2
	v_mul_lo_u32 v7, s12, v3
	v_mad_u64_u32 v[2:3], s[0:1], s12, v2, 0
	v_add3_u32 v3, v3, v7, v6
	v_sub_u32_e32 v6, v5, v3
	v_mov_b32_e32 v7, s13
	v_sub_co_u32_e32 v2, vcc, v4, v2
	v_subb_co_u32_e64 v4, s[0:1], v6, v7, vcc
	v_subrev_co_u32_e64 v6, s[0:1], s12, v2
	v_subbrev_co_u32_e64 v4, s[0:1], 0, v4, s[0:1]
	v_cmp_le_u32_e64 s[0:1], s13, v4
	v_subb_co_u32_e32 v3, vcc, v5, v3, vcc
	v_cndmask_b32_e64 v7, 0, -1, s[0:1]
	v_cmp_le_u32_e64 s[0:1], s12, v6
	v_cmp_le_u32_e32 vcc, s13, v3
	v_cndmask_b32_e64 v8, 0, -1, s[0:1]
	v_cmp_eq_u32_e64 s[0:1], s13, v4
	v_cndmask_b32_e64 v5, 0, -1, vcc
	v_cmp_le_u32_e32 vcc, s12, v2
	v_cndmask_b32_e64 v4, v7, v8, s[0:1]
	v_cndmask_b32_e64 v8, 0, -1, vcc
	v_cmp_eq_u32_e32 vcc, s13, v3
	v_subrev_co_u32_e64 v7, s[0:1], s12, v6
	v_cndmask_b32_e32 v3, v5, v8, vcc
	v_cmp_ne_u32_e32 vcc, 0, v4
	v_cndmask_b32_e32 v4, v6, v7, vcc
	v_cmp_ne_u32_e32 vcc, 0, v3
	v_cndmask_b32_e32 v2, v2, v4, vcc
                                        ; implicit-def: $vgpr4_vgpr5
.LBB7_7:
	s_andn2_saveexec_b64 s[0:1], s[2:3]
	s_cbranch_execz .LBB7_9
; %bb.8:
	v_cvt_f32_u32_e32 v2, s12
	s_sub_i32 s2, 0, s12
	v_rcp_iflag_f32_e32 v2, v2
	v_mul_f32_e32 v2, 0x4f7ffffe, v2
	v_cvt_u32_f32_e32 v2, v2
	v_mul_lo_u32 v3, s2, v2
	v_mul_hi_u32 v3, v2, v3
	v_add_u32_e32 v2, v2, v3
	v_mul_hi_u32 v2, v4, v2
	v_mul_lo_u32 v2, v2, s12
	v_sub_u32_e32 v2, v4, v2
	v_subrev_u32_e32 v3, s12, v2
	v_cmp_le_u32_e32 vcc, s12, v2
	v_cndmask_b32_e32 v2, v2, v3, vcc
	v_subrev_u32_e32 v3, s12, v2
	v_cmp_le_u32_e32 vcc, s12, v2
	v_cndmask_b32_e32 v2, v2, v3, vcc
.LBB7_9:
	s_or_b64 exec, exec, s[0:1]
	v_cvt_f32_u32_e32 v12, s24
	v_cvt_f32_u32_e32 v13, s25
	v_or_b32_e32 v4, s25, v1
	v_mov_b32_e32 v3, 0
	v_cmp_ne_u64_e32 vcc, 0, v[3:4]
                                        ; implicit-def: $vgpr3_vgpr4
	s_and_saveexec_b64 s[0:1], vcc
	s_xor_b64 s[2:3], exec, s[0:1]
	s_cbranch_execz .LBB7_11
; %bb.10:
	v_madmk_f32 v3, v13, 0x4f800000, v12
	v_rcp_f32_e32 v3, v3
	s_sub_u32 s6, 0, s24
	s_subb_u32 s7, 0, s25
	v_mul_f32_e32 v3, 0x5f7ffffc, v3
	v_mul_f32_e32 v4, 0x2f800000, v3
	v_trunc_f32_e32 v4, v4
	v_madmk_f32 v3, v4, 0xcf800000, v3
	v_cvt_u32_f32_e32 v4, v4
	v_cvt_u32_f32_e32 v3, v3
	v_readfirstlane_b32 s28, v4
	v_readfirstlane_b32 s0, v3
	s_mul_i32 s1, s6, s28
	s_mul_hi_u32 s30, s6, s0
	s_mul_i32 s29, s7, s0
	s_add_i32 s1, s30, s1
	s_add_i32 s1, s1, s29
	s_mul_i32 s31, s6, s0
	s_mul_i32 s30, s0, s1
	s_mul_hi_u32 s33, s0, s31
	s_mul_hi_u32 s29, s0, s1
	s_add_u32 s30, s33, s30
	s_addc_u32 s29, 0, s29
	s_mul_hi_u32 s34, s28, s31
	s_mul_i32 s31, s28, s31
	s_add_u32 s30, s30, s31
	s_mul_hi_u32 s33, s28, s1
	s_addc_u32 s29, s29, s34
	s_addc_u32 s30, s33, 0
	s_mul_i32 s1, s28, s1
	s_add_u32 s1, s29, s1
	s_addc_u32 s29, 0, s30
	s_add_u32 s30, s0, s1
	s_cselect_b64 s[0:1], -1, 0
	s_cmp_lg_u64 s[0:1], 0
	s_addc_u32 s28, s28, s29
	s_mul_i32 s0, s6, s28
	s_mul_hi_u32 s1, s6, s30
	s_add_i32 s0, s1, s0
	s_mul_i32 s7, s7, s30
	s_add_i32 s0, s0, s7
	s_mul_i32 s6, s6, s30
	s_mul_hi_u32 s7, s28, s6
	s_mul_i32 s29, s28, s6
	s_mul_i32 s33, s30, s0
	s_mul_hi_u32 s6, s30, s6
	s_mul_hi_u32 s31, s30, s0
	s_add_u32 s6, s6, s33
	s_addc_u32 s31, 0, s31
	s_add_u32 s6, s6, s29
	s_mul_hi_u32 s1, s28, s0
	s_addc_u32 s6, s31, s7
	s_addc_u32 s1, s1, 0
	s_mul_i32 s0, s28, s0
	s_add_u32 s0, s6, s0
	s_addc_u32 s6, 0, s1
	s_add_u32 s7, s30, s0
	s_cselect_b64 s[0:1], -1, 0
	s_cmp_lg_u64 s[0:1], 0
	s_addc_u32 s6, s28, s6
	v_mad_u64_u32 v[3:4], s[0:1], v0, s6, 0
	v_mul_hi_u32 v5, v0, s7
	v_add_co_u32_e32 v7, vcc, v5, v3
	v_addc_co_u32_e32 v8, vcc, 0, v4, vcc
	v_mad_u64_u32 v[3:4], s[0:1], v1, s7, 0
	v_mad_u64_u32 v[5:6], s[0:1], v1, s6, 0
	v_add_co_u32_e32 v3, vcc, v7, v3
	v_addc_co_u32_e32 v3, vcc, v8, v4, vcc
	v_addc_co_u32_e32 v4, vcc, 0, v6, vcc
	v_add_co_u32_e32 v5, vcc, v3, v5
	v_addc_co_u32_e32 v6, vcc, 0, v4, vcc
	v_mul_lo_u32 v7, s25, v5
	v_mul_lo_u32 v8, s24, v6
	v_mad_u64_u32 v[3:4], s[0:1], s24, v5, 0
	v_add3_u32 v4, v4, v8, v7
	v_sub_u32_e32 v7, v1, v4
	v_mov_b32_e32 v8, s25
	v_sub_co_u32_e32 v3, vcc, v0, v3
	v_subb_co_u32_e64 v7, s[0:1], v7, v8, vcc
	v_subrev_co_u32_e64 v8, s[0:1], s24, v3
	v_subbrev_co_u32_e64 v7, s[0:1], 0, v7, s[0:1]
	v_cmp_le_u32_e64 s[0:1], s25, v7
	v_cndmask_b32_e64 v9, 0, -1, s[0:1]
	v_cmp_le_u32_e64 s[0:1], s24, v8
	v_cndmask_b32_e64 v8, 0, -1, s[0:1]
	v_cmp_eq_u32_e64 s[0:1], s25, v7
	v_cndmask_b32_e64 v7, v9, v8, s[0:1]
	v_add_co_u32_e64 v8, s[0:1], 2, v5
	v_addc_co_u32_e64 v9, s[0:1], 0, v6, s[0:1]
	v_add_co_u32_e64 v10, s[0:1], 1, v5
	v_addc_co_u32_e64 v11, s[0:1], 0, v6, s[0:1]
	v_subb_co_u32_e32 v4, vcc, v1, v4, vcc
	v_cmp_ne_u32_e64 s[0:1], 0, v7
	v_cmp_le_u32_e32 vcc, s25, v4
	v_cndmask_b32_e64 v7, v11, v9, s[0:1]
	v_cndmask_b32_e64 v9, 0, -1, vcc
	v_cmp_le_u32_e32 vcc, s24, v3
	v_cndmask_b32_e64 v3, 0, -1, vcc
	v_cmp_eq_u32_e32 vcc, s25, v4
	v_cndmask_b32_e32 v3, v9, v3, vcc
	v_cmp_ne_u32_e32 vcc, 0, v3
	v_cndmask_b32_e64 v3, v10, v8, s[0:1]
	v_cndmask_b32_e32 v4, v6, v7, vcc
	v_cndmask_b32_e32 v3, v5, v3, vcc
.LBB7_11:
	s_or_saveexec_b64 s[0:1], s[2:3]
	v_cvt_f32_u32_e32 v14, s24
	s_xor_b64 exec, exec, s[0:1]
	s_cbranch_execz .LBB7_13
; %bb.12:
	v_rcp_iflag_f32_e32 v3, v14
	s_sub_i32 s2, 0, s24
	v_mul_f32_e32 v3, 0x4f7ffffe, v3
	v_cvt_u32_f32_e32 v3, v3
	v_mul_lo_u32 v4, s2, v3
	v_mul_hi_u32 v4, v3, v4
	v_add_u32_e32 v3, v3, v4
	v_mul_hi_u32 v3, v0, v3
	v_mul_lo_u32 v4, v3, s24
	v_add_u32_e32 v5, 1, v3
	v_sub_u32_e32 v4, v0, v4
	v_subrev_u32_e32 v6, s24, v4
	v_cmp_le_u32_e32 vcc, s24, v4
	v_cndmask_b32_e32 v4, v4, v6, vcc
	v_cndmask_b32_e32 v3, v3, v5, vcc
	v_add_u32_e32 v5, 1, v3
	v_cmp_le_u32_e32 vcc, s24, v4
	v_cndmask_b32_e32 v3, v3, v5, vcc
	v_mov_b32_e32 v4, 0
.LBB7_13:
	s_or_b64 exec, exec, s[0:1]
	v_cvt_f32_u32_e32 v9, s22
	v_cvt_f32_u32_e32 v10, s23
	v_or_b32_e32 v6, s23, v1
	v_mov_b32_e32 v5, 0
	v_cmp_ne_u64_e32 vcc, 0, v[5:6]
                                        ; implicit-def: $vgpr5_vgpr6
	s_and_saveexec_b64 s[0:1], vcc
	s_xor_b64 s[2:3], exec, s[0:1]
	s_cbranch_execz .LBB7_15
; %bb.14:
	v_madmk_f32 v5, v10, 0x4f800000, v9
	v_rcp_f32_e32 v5, v5
	s_sub_u32 s6, 0, s22
	s_subb_u32 s7, 0, s23
	v_mul_f32_e32 v5, 0x5f7ffffc, v5
	v_mul_f32_e32 v6, 0x2f800000, v5
	v_trunc_f32_e32 v6, v6
	v_madmk_f32 v5, v6, 0xcf800000, v5
	v_cvt_u32_f32_e32 v6, v6
	v_cvt_u32_f32_e32 v5, v5
	v_readfirstlane_b32 s28, v6
	v_readfirstlane_b32 s0, v5
	s_mul_i32 s1, s6, s28
	s_mul_hi_u32 s30, s6, s0
	s_mul_i32 s29, s7, s0
	s_add_i32 s1, s30, s1
	s_add_i32 s1, s1, s29
	s_mul_i32 s31, s6, s0
	s_mul_i32 s30, s0, s1
	s_mul_hi_u32 s33, s0, s31
	s_mul_hi_u32 s29, s0, s1
	s_add_u32 s30, s33, s30
	s_addc_u32 s29, 0, s29
	s_mul_hi_u32 s34, s28, s31
	s_mul_i32 s31, s28, s31
	s_add_u32 s30, s30, s31
	s_mul_hi_u32 s33, s28, s1
	s_addc_u32 s29, s29, s34
	s_addc_u32 s30, s33, 0
	s_mul_i32 s1, s28, s1
	s_add_u32 s1, s29, s1
	s_addc_u32 s29, 0, s30
	s_add_u32 s30, s0, s1
	s_cselect_b64 s[0:1], -1, 0
	s_cmp_lg_u64 s[0:1], 0
	s_addc_u32 s28, s28, s29
	s_mul_i32 s0, s6, s28
	s_mul_hi_u32 s1, s6, s30
	s_add_i32 s0, s1, s0
	s_mul_i32 s7, s7, s30
	s_add_i32 s0, s0, s7
	s_mul_i32 s6, s6, s30
	s_mul_hi_u32 s7, s28, s6
	s_mul_i32 s29, s28, s6
	s_mul_i32 s33, s30, s0
	s_mul_hi_u32 s6, s30, s6
	s_mul_hi_u32 s31, s30, s0
	s_add_u32 s6, s6, s33
	s_addc_u32 s31, 0, s31
	s_add_u32 s6, s6, s29
	s_mul_hi_u32 s1, s28, s0
	s_addc_u32 s6, s31, s7
	s_addc_u32 s1, s1, 0
	s_mul_i32 s0, s28, s0
	s_add_u32 s0, s6, s0
	s_addc_u32 s6, 0, s1
	s_add_u32 s7, s30, s0
	s_cselect_b64 s[0:1], -1, 0
	s_cmp_lg_u64 s[0:1], 0
	s_addc_u32 s6, s28, s6
	v_mad_u64_u32 v[5:6], s[0:1], v0, s6, 0
	v_mul_hi_u32 v7, v0, s7
	v_add_co_u32_e32 v11, vcc, v7, v5
	v_addc_co_u32_e32 v15, vcc, 0, v6, vcc
	v_mad_u64_u32 v[5:6], s[0:1], v1, s7, 0
	v_mad_u64_u32 v[7:8], s[0:1], v1, s6, 0
	v_add_co_u32_e32 v5, vcc, v11, v5
	v_addc_co_u32_e32 v5, vcc, v15, v6, vcc
	v_addc_co_u32_e32 v6, vcc, 0, v8, vcc
	v_add_co_u32_e32 v7, vcc, v5, v7
	v_addc_co_u32_e32 v8, vcc, 0, v6, vcc
	v_mul_lo_u32 v11, s23, v7
	v_mul_lo_u32 v15, s22, v8
	v_mad_u64_u32 v[5:6], s[0:1], s22, v7, 0
	v_add3_u32 v6, v6, v15, v11
	v_sub_u32_e32 v11, v1, v6
	v_mov_b32_e32 v15, s23
	v_sub_co_u32_e32 v5, vcc, v0, v5
	v_subb_co_u32_e64 v11, s[0:1], v11, v15, vcc
	v_subrev_co_u32_e64 v15, s[0:1], s22, v5
	v_subbrev_co_u32_e64 v11, s[0:1], 0, v11, s[0:1]
	v_cmp_le_u32_e64 s[0:1], s23, v11
	v_cndmask_b32_e64 v16, 0, -1, s[0:1]
	v_cmp_le_u32_e64 s[0:1], s22, v15
	v_cndmask_b32_e64 v15, 0, -1, s[0:1]
	v_cmp_eq_u32_e64 s[0:1], s23, v11
	v_cndmask_b32_e64 v11, v16, v15, s[0:1]
	v_add_co_u32_e64 v15, s[0:1], 2, v7
	v_addc_co_u32_e64 v16, s[0:1], 0, v8, s[0:1]
	v_add_co_u32_e64 v17, s[0:1], 1, v7
	v_addc_co_u32_e64 v18, s[0:1], 0, v8, s[0:1]
	v_subb_co_u32_e32 v6, vcc, v1, v6, vcc
	v_cmp_ne_u32_e64 s[0:1], 0, v11
	v_cmp_le_u32_e32 vcc, s23, v6
	v_cndmask_b32_e64 v11, v18, v16, s[0:1]
	v_cndmask_b32_e64 v16, 0, -1, vcc
	v_cmp_le_u32_e32 vcc, s22, v5
	v_cndmask_b32_e64 v5, 0, -1, vcc
	v_cmp_eq_u32_e32 vcc, s23, v6
	v_cndmask_b32_e32 v5, v16, v5, vcc
	v_cmp_ne_u32_e32 vcc, 0, v5
	v_cndmask_b32_e64 v5, v17, v15, s[0:1]
	v_cndmask_b32_e32 v6, v8, v11, vcc
	v_cndmask_b32_e32 v5, v7, v5, vcc
.LBB7_15:
	s_or_saveexec_b64 s[0:1], s[2:3]
	v_cvt_f32_u32_e32 v11, s22
	s_xor_b64 exec, exec, s[0:1]
	s_cbranch_execz .LBB7_17
; %bb.16:
	v_rcp_iflag_f32_e32 v5, v11
	s_sub_i32 s2, 0, s22
	v_mul_f32_e32 v5, 0x4f7ffffe, v5
	v_cvt_u32_f32_e32 v5, v5
	v_mul_lo_u32 v6, s2, v5
	v_mul_hi_u32 v6, v5, v6
	v_add_u32_e32 v5, v5, v6
	v_mul_hi_u32 v5, v0, v5
	v_mul_lo_u32 v6, v5, s22
	v_add_u32_e32 v7, 1, v5
	v_sub_u32_e32 v6, v0, v6
	v_subrev_u32_e32 v8, s22, v6
	v_cmp_le_u32_e32 vcc, s22, v6
	v_cndmask_b32_e32 v6, v6, v8, vcc
	v_cndmask_b32_e32 v5, v5, v7, vcc
	v_add_u32_e32 v7, 1, v5
	v_cmp_le_u32_e32 vcc, s22, v6
	v_cndmask_b32_e32 v5, v5, v7, vcc
	v_mov_b32_e32 v6, 0
.LBB7_17:
	s_or_b64 exec, exec, s[0:1]
	v_or_b32_e32 v8, s25, v6
	v_mov_b32_e32 v7, 0
	v_cmp_ne_u64_e32 vcc, 0, v[7:8]
                                        ; implicit-def: $vgpr7_vgpr8
	s_and_saveexec_b64 s[0:1], vcc
	s_xor_b64 s[2:3], exec, s[0:1]
	s_cbranch_execz .LBB7_19
; %bb.18:
	v_madmk_f32 v7, v13, 0x4f800000, v12
	v_rcp_f32_e32 v7, v7
	s_sub_u32 s6, 0, s24
	s_subb_u32 s7, 0, s25
	v_mul_f32_e32 v7, 0x5f7ffffc, v7
	v_mul_f32_e32 v8, 0x2f800000, v7
	v_trunc_f32_e32 v8, v8
	v_madmk_f32 v7, v8, 0xcf800000, v7
	v_cvt_u32_f32_e32 v8, v8
	v_cvt_u32_f32_e32 v7, v7
	v_readfirstlane_b32 s28, v8
	v_readfirstlane_b32 s0, v7
	s_mul_i32 s1, s6, s28
	s_mul_hi_u32 s30, s6, s0
	s_mul_i32 s29, s7, s0
	s_add_i32 s1, s30, s1
	s_add_i32 s1, s1, s29
	s_mul_i32 s31, s6, s0
	s_mul_i32 s30, s0, s1
	s_mul_hi_u32 s33, s0, s31
	s_mul_hi_u32 s29, s0, s1
	s_add_u32 s30, s33, s30
	s_addc_u32 s29, 0, s29
	s_mul_hi_u32 s34, s28, s31
	s_mul_i32 s31, s28, s31
	s_add_u32 s30, s30, s31
	s_mul_hi_u32 s33, s28, s1
	s_addc_u32 s29, s29, s34
	s_addc_u32 s30, s33, 0
	s_mul_i32 s1, s28, s1
	s_add_u32 s1, s29, s1
	s_addc_u32 s29, 0, s30
	s_add_u32 s30, s0, s1
	s_cselect_b64 s[0:1], -1, 0
	s_cmp_lg_u64 s[0:1], 0
	s_addc_u32 s28, s28, s29
	s_mul_i32 s0, s6, s28
	s_mul_hi_u32 s1, s6, s30
	s_add_i32 s0, s1, s0
	s_mul_i32 s7, s7, s30
	s_add_i32 s0, s0, s7
	s_mul_i32 s6, s6, s30
	s_mul_hi_u32 s7, s28, s6
	s_mul_i32 s29, s28, s6
	s_mul_i32 s33, s30, s0
	s_mul_hi_u32 s6, s30, s6
	s_mul_hi_u32 s31, s30, s0
	s_add_u32 s6, s6, s33
	s_addc_u32 s31, 0, s31
	s_add_u32 s6, s6, s29
	s_mul_hi_u32 s1, s28, s0
	s_addc_u32 s6, s31, s7
	s_addc_u32 s1, s1, 0
	s_mul_i32 s0, s28, s0
	s_add_u32 s0, s6, s0
	s_addc_u32 s6, 0, s1
	s_add_u32 s7, s30, s0
	s_cselect_b64 s[0:1], -1, 0
	s_cmp_lg_u64 s[0:1], 0
	s_addc_u32 s6, s28, s6
	v_mad_u64_u32 v[7:8], s[0:1], v5, s6, 0
	v_mul_hi_u32 v12, v5, s7
	v_add_co_u32_e32 v14, vcc, v12, v7
	v_addc_co_u32_e32 v15, vcc, 0, v8, vcc
	v_mad_u64_u32 v[7:8], s[0:1], v6, s7, 0
	v_mad_u64_u32 v[12:13], s[0:1], v6, s6, 0
	v_add_co_u32_e32 v7, vcc, v14, v7
	v_addc_co_u32_e32 v7, vcc, v15, v8, vcc
	v_addc_co_u32_e32 v8, vcc, 0, v13, vcc
	v_add_co_u32_e32 v12, vcc, v7, v12
	v_addc_co_u32_e32 v13, vcc, 0, v8, vcc
	v_mul_lo_u32 v14, s25, v12
	v_mul_lo_u32 v15, s24, v13
	v_mad_u64_u32 v[7:8], s[0:1], s24, v12, 0
	v_add3_u32 v8, v8, v15, v14
	v_sub_u32_e32 v14, v6, v8
	v_mov_b32_e32 v15, s25
	v_sub_co_u32_e32 v5, vcc, v5, v7
	v_subb_co_u32_e64 v7, s[0:1], v14, v15, vcc
	v_subrev_co_u32_e64 v14, s[0:1], s24, v5
	v_subbrev_co_u32_e64 v7, s[0:1], 0, v7, s[0:1]
	v_cmp_le_u32_e64 s[0:1], s25, v7
	v_cndmask_b32_e64 v15, 0, -1, s[0:1]
	v_cmp_le_u32_e64 s[0:1], s24, v14
	v_cndmask_b32_e64 v14, 0, -1, s[0:1]
	v_cmp_eq_u32_e64 s[0:1], s25, v7
	v_cndmask_b32_e64 v7, v15, v14, s[0:1]
	v_add_co_u32_e64 v14, s[0:1], 2, v12
	v_subb_co_u32_e32 v6, vcc, v6, v8, vcc
	v_addc_co_u32_e64 v15, s[0:1], 0, v13, s[0:1]
	v_cmp_le_u32_e32 vcc, s25, v6
	v_add_co_u32_e64 v16, s[0:1], 1, v12
	v_cndmask_b32_e64 v8, 0, -1, vcc
	v_cmp_le_u32_e32 vcc, s24, v5
	v_addc_co_u32_e64 v17, s[0:1], 0, v13, s[0:1]
	v_cndmask_b32_e64 v5, 0, -1, vcc
	v_cmp_eq_u32_e32 vcc, s25, v6
	v_cmp_ne_u32_e64 s[0:1], 0, v7
	v_cndmask_b32_e32 v5, v8, v5, vcc
	v_cndmask_b32_e64 v7, v17, v15, s[0:1]
	v_cmp_ne_u32_e32 vcc, 0, v5
	v_cndmask_b32_e64 v5, v16, v14, s[0:1]
	v_cndmask_b32_e32 v8, v13, v7, vcc
	v_cndmask_b32_e32 v7, v12, v5, vcc
                                        ; implicit-def: $vgpr14
                                        ; implicit-def: $vgpr5_vgpr6
.LBB7_19:
	s_andn2_saveexec_b64 s[0:1], s[2:3]
	s_cbranch_execz .LBB7_21
; %bb.20:
	v_rcp_iflag_f32_e32 v6, v14
	s_sub_i32 s2, 0, s24
	v_mul_f32_e32 v6, 0x4f7ffffe, v6
	v_cvt_u32_f32_e32 v6, v6
	v_mul_lo_u32 v7, s2, v6
	v_mul_hi_u32 v7, v6, v7
	v_add_u32_e32 v6, v6, v7
	v_mul_hi_u32 v6, v5, v6
	v_mul_lo_u32 v7, v6, s24
	v_add_u32_e32 v8, 1, v6
	v_sub_u32_e32 v5, v5, v7
	v_subrev_u32_e32 v7, s24, v5
	v_cmp_le_u32_e32 vcc, s24, v5
	v_cndmask_b32_e32 v5, v5, v7, vcc
	v_cndmask_b32_e32 v6, v6, v8, vcc
	v_add_u32_e32 v7, 1, v6
	v_cmp_le_u32_e32 vcc, s24, v5
	v_cndmask_b32_e32 v7, v6, v7, vcc
	v_mov_b32_e32 v8, 0
.LBB7_21:
	s_or_b64 exec, exec, s[0:1]
	v_or_b32_e32 v6, s21, v8
	v_mov_b32_e32 v5, 0
	v_cmp_ne_u64_e32 vcc, 0, v[5:6]
                                        ; implicit-def: $vgpr5_vgpr6
	s_and_saveexec_b64 s[0:1], vcc
	s_xor_b64 s[2:3], exec, s[0:1]
	s_cbranch_execz .LBB7_23
; %bb.22:
	v_cvt_f32_u32_e32 v5, s20
	v_cvt_f32_u32_e32 v6, s21
	s_sub_u32 s6, 0, s20
	s_subb_u32 s7, 0, s21
	v_madmk_f32 v5, v6, 0x4f800000, v5
	v_rcp_f32_e32 v5, v5
	v_mul_f32_e32 v5, 0x5f7ffffc, v5
	v_mul_f32_e32 v6, 0x2f800000, v5
	v_trunc_f32_e32 v6, v6
	v_madmk_f32 v5, v6, 0xcf800000, v5
	v_cvt_u32_f32_e32 v6, v6
	v_cvt_u32_f32_e32 v5, v5
	v_readfirstlane_b32 s28, v6
	v_readfirstlane_b32 s0, v5
	s_mul_i32 s1, s6, s28
	s_mul_hi_u32 s30, s6, s0
	s_mul_i32 s29, s7, s0
	s_add_i32 s1, s30, s1
	s_mul_i32 s31, s6, s0
	s_add_i32 s1, s1, s29
	s_mul_i32 s30, s0, s1
	s_mul_hi_u32 s33, s0, s31
	s_mul_hi_u32 s29, s0, s1
	s_add_u32 s30, s33, s30
	s_addc_u32 s29, 0, s29
	s_mul_hi_u32 s34, s28, s31
	s_mul_i32 s31, s28, s31
	s_add_u32 s30, s30, s31
	s_mul_hi_u32 s33, s28, s1
	s_addc_u32 s29, s29, s34
	s_addc_u32 s30, s33, 0
	s_mul_i32 s1, s28, s1
	s_add_u32 s1, s29, s1
	s_addc_u32 s29, 0, s30
	s_add_u32 s30, s0, s1
	s_cselect_b64 s[0:1], -1, 0
	s_cmp_lg_u64 s[0:1], 0
	s_addc_u32 s28, s28, s29
	s_mul_i32 s0, s6, s28
	s_mul_hi_u32 s1, s6, s30
	s_add_i32 s0, s1, s0
	s_mul_i32 s7, s7, s30
	s_add_i32 s0, s0, s7
	s_mul_i32 s6, s6, s30
	s_mul_hi_u32 s7, s28, s6
	s_mul_i32 s29, s28, s6
	s_mul_i32 s33, s30, s0
	s_mul_hi_u32 s6, s30, s6
	s_mul_hi_u32 s31, s30, s0
	s_add_u32 s6, s6, s33
	s_addc_u32 s31, 0, s31
	s_add_u32 s6, s6, s29
	s_mul_hi_u32 s1, s28, s0
	s_addc_u32 s6, s31, s7
	s_addc_u32 s1, s1, 0
	s_mul_i32 s0, s28, s0
	s_add_u32 s0, s6, s0
	s_addc_u32 s6, 0, s1
	s_add_u32 s7, s30, s0
	s_cselect_b64 s[0:1], -1, 0
	s_cmp_lg_u64 s[0:1], 0
	s_addc_u32 s6, s28, s6
	v_mad_u64_u32 v[5:6], s[0:1], v7, s6, 0
	v_mul_hi_u32 v12, v7, s7
	v_add_co_u32_e32 v14, vcc, v12, v5
	v_addc_co_u32_e32 v15, vcc, 0, v6, vcc
	v_mad_u64_u32 v[5:6], s[0:1], v8, s7, 0
	v_mad_u64_u32 v[12:13], s[0:1], v8, s6, 0
	v_add_co_u32_e32 v5, vcc, v14, v5
	v_addc_co_u32_e32 v5, vcc, v15, v6, vcc
	v_addc_co_u32_e32 v6, vcc, 0, v13, vcc
	v_add_co_u32_e32 v5, vcc, v5, v12
	v_addc_co_u32_e32 v6, vcc, 0, v6, vcc
	v_mul_lo_u32 v12, s21, v5
	v_mul_lo_u32 v13, s20, v6
	v_mad_u64_u32 v[5:6], s[0:1], s20, v5, 0
	v_add3_u32 v6, v6, v13, v12
	v_sub_u32_e32 v12, v8, v6
	v_mov_b32_e32 v13, s21
	v_sub_co_u32_e32 v5, vcc, v7, v5
	v_subb_co_u32_e64 v7, s[0:1], v12, v13, vcc
	v_subrev_co_u32_e64 v12, s[0:1], s20, v5
	v_subbrev_co_u32_e64 v7, s[0:1], 0, v7, s[0:1]
	v_cmp_le_u32_e64 s[0:1], s21, v7
	v_subb_co_u32_e32 v6, vcc, v8, v6, vcc
	v_cndmask_b32_e64 v13, 0, -1, s[0:1]
	v_cmp_le_u32_e64 s[0:1], s20, v12
	v_cmp_le_u32_e32 vcc, s21, v6
	v_cndmask_b32_e64 v14, 0, -1, s[0:1]
	v_cmp_eq_u32_e64 s[0:1], s21, v7
	v_cndmask_b32_e64 v8, 0, -1, vcc
	v_cmp_le_u32_e32 vcc, s20, v5
	v_cndmask_b32_e64 v7, v13, v14, s[0:1]
	v_cndmask_b32_e64 v14, 0, -1, vcc
	v_cmp_eq_u32_e32 vcc, s21, v6
	v_subrev_co_u32_e64 v13, s[0:1], s20, v12
	v_cndmask_b32_e32 v6, v8, v14, vcc
	v_cmp_ne_u32_e32 vcc, 0, v7
	v_cndmask_b32_e32 v7, v12, v13, vcc
	v_cmp_ne_u32_e32 vcc, 0, v6
	v_cndmask_b32_e32 v5, v5, v7, vcc
                                        ; implicit-def: $vgpr7_vgpr8
.LBB7_23:
	s_andn2_saveexec_b64 s[0:1], s[2:3]
	s_cbranch_execz .LBB7_25
; %bb.24:
	v_cvt_f32_u32_e32 v5, s20
	s_sub_i32 s2, 0, s20
	v_rcp_iflag_f32_e32 v5, v5
	v_mul_f32_e32 v5, 0x4f7ffffe, v5
	v_cvt_u32_f32_e32 v5, v5
	v_mul_lo_u32 v6, s2, v5
	v_mul_hi_u32 v6, v5, v6
	v_add_u32_e32 v5, v5, v6
	v_mul_hi_u32 v5, v7, v5
	v_mul_lo_u32 v5, v5, s20
	v_sub_u32_e32 v5, v7, v5
	v_subrev_u32_e32 v6, s20, v5
	v_cmp_le_u32_e32 vcc, s20, v5
	v_cndmask_b32_e32 v5, v5, v6, vcc
	v_subrev_u32_e32 v6, s20, v5
	v_cmp_le_u32_e32 vcc, s20, v5
	v_cndmask_b32_e32 v5, v5, v6, vcc
.LBB7_25:
	s_or_b64 exec, exec, s[0:1]
	v_or_b32_e32 v7, s23, v4
	v_mov_b32_e32 v6, 0
	v_cmp_ne_u64_e32 vcc, 0, v[6:7]
                                        ; implicit-def: $vgpr6_vgpr7
	s_and_saveexec_b64 s[0:1], vcc
	s_xor_b64 s[2:3], exec, s[0:1]
	s_cbranch_execz .LBB7_27
; %bb.26:
	v_madmk_f32 v6, v10, 0x4f800000, v9
	v_rcp_f32_e32 v6, v6
	s_sub_u32 s6, 0, s22
	s_subb_u32 s7, 0, s23
	v_mul_f32_e32 v6, 0x5f7ffffc, v6
	v_mul_f32_e32 v7, 0x2f800000, v6
	v_trunc_f32_e32 v7, v7
	v_madmk_f32 v6, v7, 0xcf800000, v6
	v_cvt_u32_f32_e32 v7, v7
	v_cvt_u32_f32_e32 v6, v6
	v_readfirstlane_b32 s28, v7
	v_readfirstlane_b32 s0, v6
	s_mul_i32 s1, s6, s28
	s_mul_hi_u32 s30, s6, s0
	s_mul_i32 s29, s7, s0
	s_add_i32 s1, s30, s1
	s_add_i32 s1, s1, s29
	s_mul_i32 s31, s6, s0
	s_mul_i32 s30, s0, s1
	s_mul_hi_u32 s33, s0, s31
	s_mul_hi_u32 s29, s0, s1
	s_add_u32 s30, s33, s30
	s_addc_u32 s29, 0, s29
	s_mul_hi_u32 s34, s28, s31
	s_mul_i32 s31, s28, s31
	s_add_u32 s30, s30, s31
	s_mul_hi_u32 s33, s28, s1
	s_addc_u32 s29, s29, s34
	s_addc_u32 s30, s33, 0
	s_mul_i32 s1, s28, s1
	s_add_u32 s1, s29, s1
	s_addc_u32 s29, 0, s30
	s_add_u32 s30, s0, s1
	s_cselect_b64 s[0:1], -1, 0
	s_cmp_lg_u64 s[0:1], 0
	s_addc_u32 s28, s28, s29
	s_mul_i32 s0, s6, s28
	s_mul_hi_u32 s1, s6, s30
	s_add_i32 s0, s1, s0
	s_mul_i32 s7, s7, s30
	s_add_i32 s0, s0, s7
	s_mul_i32 s6, s6, s30
	s_mul_hi_u32 s7, s28, s6
	s_mul_i32 s29, s28, s6
	s_mul_i32 s33, s30, s0
	s_mul_hi_u32 s6, s30, s6
	s_mul_hi_u32 s31, s30, s0
	s_add_u32 s6, s6, s33
	s_addc_u32 s31, 0, s31
	s_add_u32 s6, s6, s29
	s_mul_hi_u32 s1, s28, s0
	s_addc_u32 s6, s31, s7
	s_addc_u32 s1, s1, 0
	s_mul_i32 s0, s28, s0
	s_add_u32 s0, s6, s0
	s_addc_u32 s6, 0, s1
	s_add_u32 s7, s30, s0
	s_cselect_b64 s[0:1], -1, 0
	s_cmp_lg_u64 s[0:1], 0
	s_addc_u32 s6, s28, s6
	v_mad_u64_u32 v[6:7], s[0:1], v3, s6, 0
	v_mul_hi_u32 v8, v3, s7
	v_add_co_u32_e32 v10, vcc, v8, v6
	v_addc_co_u32_e32 v11, vcc, 0, v7, vcc
	v_mad_u64_u32 v[6:7], s[0:1], v4, s7, 0
	v_mad_u64_u32 v[8:9], s[0:1], v4, s6, 0
	v_add_co_u32_e32 v6, vcc, v10, v6
	v_addc_co_u32_e32 v6, vcc, v11, v7, vcc
	v_addc_co_u32_e32 v7, vcc, 0, v9, vcc
	v_add_co_u32_e32 v6, vcc, v6, v8
	v_addc_co_u32_e32 v7, vcc, 0, v7, vcc
	v_mul_lo_u32 v8, s23, v6
	v_mul_lo_u32 v9, s22, v7
	v_mad_u64_u32 v[6:7], s[0:1], s22, v6, 0
	v_add3_u32 v7, v7, v9, v8
	v_sub_u32_e32 v8, v4, v7
	v_mov_b32_e32 v9, s23
	v_sub_co_u32_e32 v6, vcc, v3, v6
	v_subb_co_u32_e64 v8, s[0:1], v8, v9, vcc
	v_subrev_co_u32_e64 v9, s[0:1], s22, v6
	v_subbrev_co_u32_e64 v8, s[0:1], 0, v8, s[0:1]
	v_cmp_le_u32_e64 s[0:1], s23, v8
	v_subb_co_u32_e32 v4, vcc, v4, v7, vcc
	v_cndmask_b32_e64 v10, 0, -1, s[0:1]
	v_cmp_le_u32_e64 s[0:1], s22, v9
	v_cmp_le_u32_e32 vcc, s23, v4
	v_cndmask_b32_e64 v11, 0, -1, s[0:1]
	v_cmp_eq_u32_e64 s[0:1], s23, v8
	v_cndmask_b32_e64 v7, 0, -1, vcc
	v_cmp_le_u32_e32 vcc, s22, v6
	v_cndmask_b32_e64 v8, v10, v11, s[0:1]
	v_cndmask_b32_e64 v11, 0, -1, vcc
	v_cmp_eq_u32_e32 vcc, s23, v4
	v_subrev_co_u32_e64 v10, s[0:1], s22, v9
	v_cndmask_b32_e32 v4, v7, v11, vcc
	v_cmp_ne_u32_e32 vcc, 0, v8
	v_cndmask_b32_e32 v7, v9, v10, vcc
	v_cmp_ne_u32_e32 vcc, 0, v4
	v_cndmask_b32_e32 v6, v6, v7, vcc
                                        ; implicit-def: $vgpr11
.LBB7_27:
	s_andn2_saveexec_b64 s[0:1], s[2:3]
	s_cbranch_execz .LBB7_29
; %bb.28:
	v_rcp_iflag_f32_e32 v4, v11
	s_sub_i32 s2, 0, s22
	v_mul_f32_e32 v4, 0x4f7ffffe, v4
	v_cvt_u32_f32_e32 v4, v4
	v_mul_lo_u32 v6, s2, v4
	v_mul_hi_u32 v6, v4, v6
	v_add_u32_e32 v4, v4, v6
	v_mul_hi_u32 v4, v3, v4
	v_mul_lo_u32 v4, v4, s22
	v_sub_u32_e32 v4, v3, v4
	v_subrev_u32_e32 v6, s22, v4
	v_cmp_le_u32_e32 vcc, s22, v4
	v_cndmask_b32_e32 v4, v4, v6, vcc
	v_subrev_u32_e32 v6, s22, v4
	v_cmp_le_u32_e32 vcc, s22, v4
	v_cndmask_b32_e32 v6, v4, v6, vcc
.LBB7_29:
	s_or_b64 exec, exec, s[0:1]
	s_load_dwordx4 s[0:3], s[4:5], 0x50
	v_cvt_f32_i32_e32 v4, v5
	v_mul_lo_u32 v3, v3, s24
	v_cvt_f32_i32_e32 v6, v6
	s_waitcnt lgkmcnt(0)
	s_add_i32 s3, s14, -1
	v_add_f32_e32 v4, 0.5, v4
	v_sub_u32_e32 v3, v0, v3
	v_mul_f32_e32 v4, s0, v4
	v_cvt_f32_i32_e32 v3, v3
	v_floor_f32_e32 v4, v4
	v_cvt_i32_f32_e32 v4, v4
	s_mul_i32 s0, s18, s17
	v_add_f32_e32 v3, 0.5, v3
	s_mul_hi_u32 s4, s18, s16
	v_mul_f32_e32 v3, s2, v3
	s_add_i32 s0, s4, s0
	v_min_i32_e32 v7, s3, v4
	s_mul_i32 s3, s19, s16
	v_floor_f32_e32 v3, v3
	s_add_i32 s0, s0, s3
	s_mul_i32 s3, s18, s16
	v_cvt_i32_f32_e32 v3, v3
	s_mul_i32 s4, s3, s15
	s_mul_hi_u32 s5, s3, s14
	v_add_f32_e32 v6, 0.5, v6
	s_add_i32 s4, s5, s4
	s_mul_i32 s0, s0, s14
	v_mul_f32_e32 v6, s1, v6
	s_add_i32 s4, s4, s0
	s_add_i32 s0, s18, -1
	v_floor_f32_e32 v6, v6
	v_min_i32_e32 v3, s0, v3
	v_cvt_i32_f32_e32 v6, v6
	s_mul_i32 s2, s3, s14
	v_ashrrev_i32_e32 v4, 31, v3
	v_ashrrev_i32_e32 v5, 31, v2
	v_mul_lo_u32 v9, v2, s4
	v_mad_u64_u32 v[2:3], s[0:1], v2, s2, v[3:4]
	s_add_i32 s0, s16, -1
	v_min_i32_e32 v4, s0, v6
	v_mul_lo_u32 v10, v5, s2
	v_ashrrev_i32_e32 v5, 31, v4
	v_mad_u64_u32 v[4:5], s[0:1], s16, v7, v[4:5]
	v_add3_u32 v3, v10, v3, v9
	v_ashrrev_i32_e32 v8, 31, v7
	v_mad_u64_u32 v[2:3], s[0:1], v4, s18, v[2:3]
	s_mul_i32 s0, s2, s13
	s_mul_hi_u32 s1, s2, s12
	s_mul_i32 s4, s4, s12
	s_add_i32 s0, s1, s0
	v_mul_lo_u32 v6, s16, v8
	v_mul_lo_u32 v7, s17, v7
	s_add_i32 s7, s0, s4
	s_mul_i32 s0, s24, s23
	s_mul_hi_u32 s1, s24, s22
	s_add_i32 s0, s1, s0
	s_mul_i32 s1, s25, s22
	s_add_i32 s0, s0, s1
	s_mul_i32 s1, s24, s22
	s_mul_i32 s6, s2, s12
	;; [unrolled: 1-line block ×3, first 2 shown]
	s_mul_hi_u32 s3, s1, s20
	v_add3_u32 v5, v7, v5, v6
	s_add_i32 s2, s3, s2
	s_mul_i32 s0, s0, s20
	v_mul_lo_u32 v5, v5, s18
	v_mul_lo_u32 v4, v4, s19
	s_add_i32 s0, s2, s0
	s_mul_i32 s2, s1, s20
	s_mul_i32 s1, s2, s13
	s_mul_hi_u32 s3, s2, s12
	v_lshlrev_b64 v[0:1], 1, v[0:1]
	s_mul_i32 s0, s0, s12
	s_add_i32 s1, s3, s1
	s_add_i32 s1, s1, s0
	s_mul_i32 s0, s2, s12
	v_add3_u32 v3, v5, v3, v4
	v_mov_b32_e32 v4, s27
	v_add_co_u32_e32 v0, vcc, s26, v0
	s_lshl_b64 s[2:3], s[0:1], 1
	v_addc_co_u32_e32 v1, vcc, v4, v1, vcc
	s_mov_b64 s[4:5], 0
	v_mov_b32_e32 v4, s9
	v_mov_b32_e32 v5, s7
	;; [unrolled: 1-line block ×3, first 2 shown]
.LBB7_30:                               ; =>This Inner Loop Header: Depth=1
	v_lshlrev_b64 v[7:8], 1, v[2:3]
	s_add_u32 s4, s4, 1
	v_add_co_u32_e32 v7, vcc, s8, v7
	v_addc_co_u32_e32 v8, vcc, v4, v8, vcc
	global_load_ushort v9, v[7:8], off
	s_addc_u32 s5, s5, 0
	v_add_co_u32_e32 v2, vcc, s6, v2
	v_mov_b32_e32 v8, s5
	v_addc_co_u32_e32 v3, vcc, v3, v5, vcc
	v_mov_b32_e32 v7, s4
	v_cmp_gt_u64_e32 vcc, s[10:11], v[7:8]
	s_and_b64 vcc, exec, vcc
	s_waitcnt vmcnt(0)
	global_store_short v[0:1], v9, off
	v_add_co_u32_e64 v0, s[0:1], s2, v0
	v_addc_co_u32_e64 v1, s[0:1], v1, v6, s[0:1]
	s_cbranch_vccnz .LBB7_30
.LBB7_31:
	s_endpgm
	.section	.rodata,"a",@progbits
	.p2align	6, 0x0
	.amdhsa_kernel _ZN2at6native12_GLOBAL__N_128upsample_nearest3d_out_frameIN3c104HalfEXadL_ZNS0_43nearest_neighbor_exact_compute_source_indexEfiiEEEEvPKT_mmmmmmmmPS5_fff
		.amdhsa_group_segment_fixed_size 0
		.amdhsa_private_segment_fixed_size 0
		.amdhsa_kernarg_size 352
		.amdhsa_user_sgpr_count 6
		.amdhsa_user_sgpr_private_segment_buffer 1
		.amdhsa_user_sgpr_dispatch_ptr 0
		.amdhsa_user_sgpr_queue_ptr 0
		.amdhsa_user_sgpr_kernarg_segment_ptr 1
		.amdhsa_user_sgpr_dispatch_id 0
		.amdhsa_user_sgpr_flat_scratch_init 0
		.amdhsa_user_sgpr_private_segment_size 0
		.amdhsa_uses_dynamic_stack 0
		.amdhsa_system_sgpr_private_segment_wavefront_offset 0
		.amdhsa_system_sgpr_workgroup_id_x 1
		.amdhsa_system_sgpr_workgroup_id_y 0
		.amdhsa_system_sgpr_workgroup_id_z 0
		.amdhsa_system_sgpr_workgroup_info 0
		.amdhsa_system_vgpr_workitem_id 0
		.amdhsa_next_free_vgpr 19
		.amdhsa_next_free_sgpr 39
		.amdhsa_reserve_vcc 1
		.amdhsa_reserve_flat_scratch 0
		.amdhsa_float_round_mode_32 0
		.amdhsa_float_round_mode_16_64 0
		.amdhsa_float_denorm_mode_32 3
		.amdhsa_float_denorm_mode_16_64 3
		.amdhsa_dx10_clamp 1
		.amdhsa_ieee_mode 1
		.amdhsa_fp16_overflow 0
		.amdhsa_exception_fp_ieee_invalid_op 0
		.amdhsa_exception_fp_denorm_src 0
		.amdhsa_exception_fp_ieee_div_zero 0
		.amdhsa_exception_fp_ieee_overflow 0
		.amdhsa_exception_fp_ieee_underflow 0
		.amdhsa_exception_fp_ieee_inexact 0
		.amdhsa_exception_int_div_zero 0
	.end_amdhsa_kernel
	.section	.text._ZN2at6native12_GLOBAL__N_128upsample_nearest3d_out_frameIN3c104HalfEXadL_ZNS0_43nearest_neighbor_exact_compute_source_indexEfiiEEEEvPKT_mmmmmmmmPS5_fff,"axG",@progbits,_ZN2at6native12_GLOBAL__N_128upsample_nearest3d_out_frameIN3c104HalfEXadL_ZNS0_43nearest_neighbor_exact_compute_source_indexEfiiEEEEvPKT_mmmmmmmmPS5_fff,comdat
.Lfunc_end7:
	.size	_ZN2at6native12_GLOBAL__N_128upsample_nearest3d_out_frameIN3c104HalfEXadL_ZNS0_43nearest_neighbor_exact_compute_source_indexEfiiEEEEvPKT_mmmmmmmmPS5_fff, .Lfunc_end7-_ZN2at6native12_GLOBAL__N_128upsample_nearest3d_out_frameIN3c104HalfEXadL_ZNS0_43nearest_neighbor_exact_compute_source_indexEfiiEEEEvPKT_mmmmmmmmPS5_fff
                                        ; -- End function
	.set _ZN2at6native12_GLOBAL__N_128upsample_nearest3d_out_frameIN3c104HalfEXadL_ZNS0_43nearest_neighbor_exact_compute_source_indexEfiiEEEEvPKT_mmmmmmmmPS5_fff.num_vgpr, 19
	.set _ZN2at6native12_GLOBAL__N_128upsample_nearest3d_out_frameIN3c104HalfEXadL_ZNS0_43nearest_neighbor_exact_compute_source_indexEfiiEEEEvPKT_mmmmmmmmPS5_fff.num_agpr, 0
	.set _ZN2at6native12_GLOBAL__N_128upsample_nearest3d_out_frameIN3c104HalfEXadL_ZNS0_43nearest_neighbor_exact_compute_source_indexEfiiEEEEvPKT_mmmmmmmmPS5_fff.numbered_sgpr, 39
	.set _ZN2at6native12_GLOBAL__N_128upsample_nearest3d_out_frameIN3c104HalfEXadL_ZNS0_43nearest_neighbor_exact_compute_source_indexEfiiEEEEvPKT_mmmmmmmmPS5_fff.num_named_barrier, 0
	.set _ZN2at6native12_GLOBAL__N_128upsample_nearest3d_out_frameIN3c104HalfEXadL_ZNS0_43nearest_neighbor_exact_compute_source_indexEfiiEEEEvPKT_mmmmmmmmPS5_fff.private_seg_size, 0
	.set _ZN2at6native12_GLOBAL__N_128upsample_nearest3d_out_frameIN3c104HalfEXadL_ZNS0_43nearest_neighbor_exact_compute_source_indexEfiiEEEEvPKT_mmmmmmmmPS5_fff.uses_vcc, 1
	.set _ZN2at6native12_GLOBAL__N_128upsample_nearest3d_out_frameIN3c104HalfEXadL_ZNS0_43nearest_neighbor_exact_compute_source_indexEfiiEEEEvPKT_mmmmmmmmPS5_fff.uses_flat_scratch, 0
	.set _ZN2at6native12_GLOBAL__N_128upsample_nearest3d_out_frameIN3c104HalfEXadL_ZNS0_43nearest_neighbor_exact_compute_source_indexEfiiEEEEvPKT_mmmmmmmmPS5_fff.has_dyn_sized_stack, 0
	.set _ZN2at6native12_GLOBAL__N_128upsample_nearest3d_out_frameIN3c104HalfEXadL_ZNS0_43nearest_neighbor_exact_compute_source_indexEfiiEEEEvPKT_mmmmmmmmPS5_fff.has_recursion, 0
	.set _ZN2at6native12_GLOBAL__N_128upsample_nearest3d_out_frameIN3c104HalfEXadL_ZNS0_43nearest_neighbor_exact_compute_source_indexEfiiEEEEvPKT_mmmmmmmmPS5_fff.has_indirect_call, 0
	.section	.AMDGPU.csdata,"",@progbits
; Kernel info:
; codeLenInByte = 5360
; TotalNumSgprs: 43
; NumVgprs: 19
; ScratchSize: 0
; MemoryBound: 0
; FloatMode: 240
; IeeeMode: 1
; LDSByteSize: 0 bytes/workgroup (compile time only)
; SGPRBlocks: 5
; VGPRBlocks: 4
; NumSGPRsForWavesPerEU: 43
; NumVGPRsForWavesPerEU: 19
; Occupancy: 10
; WaveLimiterHint : 0
; COMPUTE_PGM_RSRC2:SCRATCH_EN: 0
; COMPUTE_PGM_RSRC2:USER_SGPR: 6
; COMPUTE_PGM_RSRC2:TRAP_HANDLER: 0
; COMPUTE_PGM_RSRC2:TGID_X_EN: 1
; COMPUTE_PGM_RSRC2:TGID_Y_EN: 0
; COMPUTE_PGM_RSRC2:TGID_Z_EN: 0
; COMPUTE_PGM_RSRC2:TIDIG_COMP_CNT: 0
	.section	.text._ZN2at6native12_GLOBAL__N_128upsample_nearest3d_out_frameIN3c108BFloat16EXadL_ZNS0_43nearest_neighbor_exact_compute_source_indexEfiiEEEEvPKT_mmmmmmmmPS5_fff,"axG",@progbits,_ZN2at6native12_GLOBAL__N_128upsample_nearest3d_out_frameIN3c108BFloat16EXadL_ZNS0_43nearest_neighbor_exact_compute_source_indexEfiiEEEEvPKT_mmmmmmmmPS5_fff,comdat
	.globl	_ZN2at6native12_GLOBAL__N_128upsample_nearest3d_out_frameIN3c108BFloat16EXadL_ZNS0_43nearest_neighbor_exact_compute_source_indexEfiiEEEEvPKT_mmmmmmmmPS5_fff ; -- Begin function _ZN2at6native12_GLOBAL__N_128upsample_nearest3d_out_frameIN3c108BFloat16EXadL_ZNS0_43nearest_neighbor_exact_compute_source_indexEfiiEEEEvPKT_mmmmmmmmPS5_fff
	.p2align	8
	.type	_ZN2at6native12_GLOBAL__N_128upsample_nearest3d_out_frameIN3c108BFloat16EXadL_ZNS0_43nearest_neighbor_exact_compute_source_indexEfiiEEEEvPKT_mmmmmmmmPS5_fff,@function
_ZN2at6native12_GLOBAL__N_128upsample_nearest3d_out_frameIN3c108BFloat16EXadL_ZNS0_43nearest_neighbor_exact_compute_source_indexEfiiEEEEvPKT_mmmmmmmmPS5_fff: ; @_ZN2at6native12_GLOBAL__N_128upsample_nearest3d_out_frameIN3c108BFloat16EXadL_ZNS0_43nearest_neighbor_exact_compute_source_indexEfiiEEEEvPKT_mmmmmmmmPS5_fff
; %bb.0:
	s_load_dword s0, s[4:5], 0x6c
	s_load_dwordx4 s[24:27], s[4:5], 0x40
	s_load_dwordx16 s[8:23], s[4:5], 0x0
	v_mov_b32_e32 v2, 0
	v_mov_b32_e32 v1, v2
	s_waitcnt lgkmcnt(0)
	s_and_b32 s0, s0, 0xffff
	v_mov_b32_e32 v3, s6
	v_mad_u64_u32 v[0:1], s[0:1], s0, v3, v[0:1]
	s_mul_i32 s0, s22, s21
	s_mul_hi_u32 s1, s22, s20
	s_add_i32 s1, s1, s0
	s_mul_i32 s0, s23, s20
	s_add_i32 s1, s1, s0
	s_mul_i32 s0, s22, s20
	s_mul_i32 s2, s0, s13
	s_mul_hi_u32 s3, s0, s12
	s_add_i32 s2, s3, s2
	s_mul_i32 s3, s1, s12
	s_mul_i32 s6, s0, s12
	s_add_i32 s2, s2, s3
	s_mul_i32 s3, s6, s25
	s_mul_hi_u32 s7, s6, s24
	s_mul_i32 s2, s2, s24
	s_add_i32 s3, s7, s3
	s_add_i32 s3, s3, s2
	s_mul_i32 s2, s6, s24
	v_cmp_gt_u64_e32 vcc, s[2:3], v[0:1]
	s_cmp_lg_u64 s[10:11], 0
	s_cselect_b64 s[2:3], -1, 0
	s_and_b64 s[2:3], vcc, s[2:3]
	s_and_saveexec_b64 s[6:7], s[2:3]
	s_cbranch_execz .LBB8_31
; %bb.1:
	s_mul_i32 s2, s0, s25
	s_mul_hi_u32 s3, s0, s24
	s_add_i32 s2, s3, s2
	s_mul_i32 s1, s1, s24
	s_add_i32 s1, s2, s1
	v_or_b32_e32 v3, s1, v1
	v_cmp_ne_u64_e32 vcc, 0, v[2:3]
	s_mul_i32 s30, s0, s24
                                        ; implicit-def: $vgpr4_vgpr5
	s_and_saveexec_b64 s[2:3], vcc
	s_xor_b64 s[2:3], exec, s[2:3]
	s_cbranch_execz .LBB8_3
; %bb.2:
	s_ashr_i32 s6, s1, 31
	s_add_u32 s0, s30, s6
	s_mov_b32 s7, s6
	s_addc_u32 s1, s1, s6
	s_xor_b64 s[28:29], s[0:1], s[6:7]
	v_cvt_f32_u32_e32 v2, s28
	v_cvt_f32_u32_e32 v3, s29
	s_sub_u32 s7, 0, s28
	s_subb_u32 s31, 0, s29
	v_ashrrev_i32_e32 v6, 31, v1
	v_madmk_f32 v2, v3, 0x4f800000, v2
	v_rcp_f32_e32 v2, v2
	v_mul_f32_e32 v2, 0x5f7ffffc, v2
	v_mul_f32_e32 v3, 0x2f800000, v2
	v_trunc_f32_e32 v3, v3
	v_madmk_f32 v2, v3, 0xcf800000, v2
	v_cvt_u32_f32_e32 v3, v3
	v_cvt_u32_f32_e32 v2, v2
	v_readfirstlane_b32 s33, v3
	v_readfirstlane_b32 s0, v2
	s_mul_i32 s1, s7, s33
	s_mul_hi_u32 s35, s7, s0
	s_mul_i32 s34, s31, s0
	s_add_i32 s1, s35, s1
	s_add_i32 s1, s1, s34
	s_mul_i32 s36, s7, s0
	s_mul_i32 s35, s0, s1
	s_mul_hi_u32 s37, s0, s36
	s_mul_hi_u32 s34, s0, s1
	s_add_u32 s35, s37, s35
	s_addc_u32 s34, 0, s34
	s_mul_hi_u32 s38, s33, s36
	s_mul_i32 s36, s33, s36
	s_add_u32 s35, s35, s36
	s_mul_hi_u32 s37, s33, s1
	s_addc_u32 s34, s34, s38
	s_addc_u32 s35, s37, 0
	s_mul_i32 s1, s33, s1
	s_add_u32 s1, s34, s1
	s_addc_u32 s34, 0, s35
	s_add_u32 s35, s0, s1
	s_cselect_b64 s[0:1], -1, 0
	s_cmp_lg_u64 s[0:1], 0
	s_addc_u32 s33, s33, s34
	s_mul_i32 s0, s7, s33
	s_mul_hi_u32 s1, s7, s35
	s_add_i32 s0, s1, s0
	s_mul_i32 s31, s31, s35
	s_add_i32 s0, s0, s31
	s_mul_i32 s7, s7, s35
	s_mul_hi_u32 s31, s33, s7
	s_mul_i32 s34, s33, s7
	s_mul_i32 s37, s35, s0
	s_mul_hi_u32 s7, s35, s7
	s_mul_hi_u32 s36, s35, s0
	s_add_u32 s7, s7, s37
	s_addc_u32 s36, 0, s36
	s_add_u32 s7, s7, s34
	s_mul_hi_u32 s1, s33, s0
	s_addc_u32 s7, s36, s31
	s_addc_u32 s1, s1, 0
	s_mul_i32 s0, s33, s0
	s_add_u32 s0, s7, s0
	s_addc_u32 s7, 0, s1
	s_add_u32 s31, s35, s0
	s_cselect_b64 s[0:1], -1, 0
	s_cmp_lg_u64 s[0:1], 0
	v_add_co_u32_e32 v2, vcc, v0, v6
	s_addc_u32 s7, s33, s7
	v_xor_b32_e32 v7, v2, v6
	v_mad_u64_u32 v[2:3], s[0:1], v7, s7, 0
	v_mul_hi_u32 v5, v7, s31
	v_addc_co_u32_e32 v4, vcc, v1, v6, vcc
	v_xor_b32_e32 v8, v4, v6
	v_add_co_u32_e32 v9, vcc, v5, v2
	v_addc_co_u32_e32 v10, vcc, 0, v3, vcc
	v_mad_u64_u32 v[2:3], s[0:1], v8, s31, 0
	v_mad_u64_u32 v[4:5], s[0:1], v8, s7, 0
	v_add_co_u32_e32 v2, vcc, v9, v2
	v_addc_co_u32_e32 v2, vcc, v10, v3, vcc
	v_addc_co_u32_e32 v3, vcc, 0, v5, vcc
	v_add_co_u32_e32 v4, vcc, v2, v4
	v_addc_co_u32_e32 v5, vcc, 0, v3, vcc
	v_mul_lo_u32 v9, s29, v4
	v_mul_lo_u32 v10, s28, v5
	v_mad_u64_u32 v[2:3], s[0:1], s28, v4, 0
	v_add3_u32 v3, v3, v10, v9
	v_sub_u32_e32 v9, v8, v3
	v_mov_b32_e32 v10, s29
	v_sub_co_u32_e32 v2, vcc, v7, v2
	v_subb_co_u32_e64 v7, s[0:1], v9, v10, vcc
	v_subrev_co_u32_e64 v9, s[0:1], s28, v2
	v_subbrev_co_u32_e64 v7, s[0:1], 0, v7, s[0:1]
	v_cmp_le_u32_e64 s[0:1], s29, v7
	v_cndmask_b32_e64 v10, 0, -1, s[0:1]
	v_cmp_le_u32_e64 s[0:1], s28, v9
	v_cndmask_b32_e64 v9, 0, -1, s[0:1]
	v_cmp_eq_u32_e64 s[0:1], s29, v7
	v_cndmask_b32_e64 v7, v10, v9, s[0:1]
	v_add_co_u32_e64 v9, s[0:1], 2, v4
	v_subb_co_u32_e32 v3, vcc, v8, v3, vcc
	v_addc_co_u32_e64 v10, s[0:1], 0, v5, s[0:1]
	v_cmp_le_u32_e32 vcc, s29, v3
	v_add_co_u32_e64 v11, s[0:1], 1, v4
	v_cndmask_b32_e64 v8, 0, -1, vcc
	v_cmp_le_u32_e32 vcc, s28, v2
	v_addc_co_u32_e64 v12, s[0:1], 0, v5, s[0:1]
	v_cndmask_b32_e64 v2, 0, -1, vcc
	v_cmp_eq_u32_e32 vcc, s29, v3
	v_cmp_ne_u32_e64 s[0:1], 0, v7
	v_cndmask_b32_e32 v2, v8, v2, vcc
	v_cndmask_b32_e64 v7, v12, v10, s[0:1]
	v_cmp_ne_u32_e32 vcc, 0, v2
	v_cndmask_b32_e64 v3, v11, v9, s[0:1]
	v_cndmask_b32_e32 v2, v5, v7, vcc
	v_cndmask_b32_e32 v3, v4, v3, vcc
	v_xor_b32_e32 v5, s6, v6
	v_xor_b32_e32 v3, v3, v5
	;; [unrolled: 1-line block ×3, first 2 shown]
	v_sub_co_u32_e32 v4, vcc, v3, v5
	v_subb_co_u32_e32 v5, vcc, v2, v5, vcc
.LBB8_3:
	s_andn2_saveexec_b64 s[0:1], s[2:3]
	s_cbranch_execz .LBB8_5
; %bb.4:
	v_cvt_f32_u32_e32 v2, s30
	s_sub_i32 s2, 0, s30
	v_rcp_iflag_f32_e32 v2, v2
	v_mul_f32_e32 v2, 0x4f7ffffe, v2
	v_cvt_u32_f32_e32 v2, v2
	v_mul_lo_u32 v3, s2, v2
	v_mul_hi_u32 v3, v2, v3
	v_add_u32_e32 v2, v2, v3
	v_mul_hi_u32 v2, v0, v2
	v_mul_lo_u32 v3, v2, s30
	v_add_u32_e32 v4, 1, v2
	v_sub_u32_e32 v3, v0, v3
	v_subrev_u32_e32 v5, s30, v3
	v_cmp_le_u32_e32 vcc, s30, v3
	v_cndmask_b32_e32 v3, v3, v5, vcc
	v_cndmask_b32_e32 v2, v2, v4, vcc
	v_add_u32_e32 v4, 1, v2
	v_cmp_le_u32_e32 vcc, s30, v3
	v_cndmask_b32_e32 v4, v2, v4, vcc
	v_mov_b32_e32 v5, 0
.LBB8_5:
	s_or_b64 exec, exec, s[0:1]
	v_or_b32_e32 v3, s13, v5
	v_mov_b32_e32 v2, 0
	v_cmp_ne_u64_e32 vcc, 0, v[2:3]
                                        ; implicit-def: $vgpr2_vgpr3
	s_and_saveexec_b64 s[0:1], vcc
	s_xor_b64 s[2:3], exec, s[0:1]
	s_cbranch_execz .LBB8_7
; %bb.6:
	v_cvt_f32_u32_e32 v2, s12
	v_cvt_f32_u32_e32 v3, s13
	s_sub_u32 s6, 0, s12
	s_subb_u32 s7, 0, s13
	v_madmk_f32 v2, v3, 0x4f800000, v2
	v_rcp_f32_e32 v2, v2
	v_mul_f32_e32 v2, 0x5f7ffffc, v2
	v_mul_f32_e32 v3, 0x2f800000, v2
	v_trunc_f32_e32 v3, v3
	v_madmk_f32 v2, v3, 0xcf800000, v2
	v_cvt_u32_f32_e32 v3, v3
	v_cvt_u32_f32_e32 v2, v2
	v_readfirstlane_b32 s28, v3
	v_readfirstlane_b32 s0, v2
	s_mul_i32 s1, s6, s28
	s_mul_hi_u32 s30, s6, s0
	s_mul_i32 s29, s7, s0
	s_add_i32 s1, s30, s1
	s_mul_i32 s31, s6, s0
	s_add_i32 s1, s1, s29
	s_mul_i32 s30, s0, s1
	s_mul_hi_u32 s33, s0, s31
	s_mul_hi_u32 s29, s0, s1
	s_add_u32 s30, s33, s30
	s_addc_u32 s29, 0, s29
	s_mul_hi_u32 s34, s28, s31
	s_mul_i32 s31, s28, s31
	s_add_u32 s30, s30, s31
	s_mul_hi_u32 s33, s28, s1
	s_addc_u32 s29, s29, s34
	s_addc_u32 s30, s33, 0
	s_mul_i32 s1, s28, s1
	s_add_u32 s1, s29, s1
	s_addc_u32 s29, 0, s30
	s_add_u32 s30, s0, s1
	s_cselect_b64 s[0:1], -1, 0
	s_cmp_lg_u64 s[0:1], 0
	s_addc_u32 s28, s28, s29
	s_mul_i32 s0, s6, s28
	s_mul_hi_u32 s1, s6, s30
	s_add_i32 s0, s1, s0
	s_mul_i32 s7, s7, s30
	s_add_i32 s0, s0, s7
	s_mul_i32 s6, s6, s30
	s_mul_hi_u32 s7, s28, s6
	s_mul_i32 s29, s28, s6
	s_mul_i32 s33, s30, s0
	s_mul_hi_u32 s6, s30, s6
	s_mul_hi_u32 s31, s30, s0
	s_add_u32 s6, s6, s33
	s_addc_u32 s31, 0, s31
	s_add_u32 s6, s6, s29
	s_mul_hi_u32 s1, s28, s0
	s_addc_u32 s6, s31, s7
	s_addc_u32 s1, s1, 0
	s_mul_i32 s0, s28, s0
	s_add_u32 s0, s6, s0
	s_addc_u32 s6, 0, s1
	s_add_u32 s7, s30, s0
	s_cselect_b64 s[0:1], -1, 0
	s_cmp_lg_u64 s[0:1], 0
	s_addc_u32 s6, s28, s6
	v_mad_u64_u32 v[2:3], s[0:1], v4, s6, 0
	v_mul_hi_u32 v6, v4, s7
	v_add_co_u32_e32 v8, vcc, v6, v2
	v_addc_co_u32_e32 v9, vcc, 0, v3, vcc
	v_mad_u64_u32 v[2:3], s[0:1], v5, s7, 0
	v_mad_u64_u32 v[6:7], s[0:1], v5, s6, 0
	v_add_co_u32_e32 v2, vcc, v8, v2
	v_addc_co_u32_e32 v2, vcc, v9, v3, vcc
	v_addc_co_u32_e32 v3, vcc, 0, v7, vcc
	v_add_co_u32_e32 v2, vcc, v2, v6
	v_addc_co_u32_e32 v3, vcc, 0, v3, vcc
	v_mul_lo_u32 v6, s13, v2
	v_mul_lo_u32 v7, s12, v3
	v_mad_u64_u32 v[2:3], s[0:1], s12, v2, 0
	v_add3_u32 v3, v3, v7, v6
	v_sub_u32_e32 v6, v5, v3
	v_mov_b32_e32 v7, s13
	v_sub_co_u32_e32 v2, vcc, v4, v2
	v_subb_co_u32_e64 v4, s[0:1], v6, v7, vcc
	v_subrev_co_u32_e64 v6, s[0:1], s12, v2
	v_subbrev_co_u32_e64 v4, s[0:1], 0, v4, s[0:1]
	v_cmp_le_u32_e64 s[0:1], s13, v4
	v_subb_co_u32_e32 v3, vcc, v5, v3, vcc
	v_cndmask_b32_e64 v7, 0, -1, s[0:1]
	v_cmp_le_u32_e64 s[0:1], s12, v6
	v_cmp_le_u32_e32 vcc, s13, v3
	v_cndmask_b32_e64 v8, 0, -1, s[0:1]
	v_cmp_eq_u32_e64 s[0:1], s13, v4
	v_cndmask_b32_e64 v5, 0, -1, vcc
	v_cmp_le_u32_e32 vcc, s12, v2
	v_cndmask_b32_e64 v4, v7, v8, s[0:1]
	v_cndmask_b32_e64 v8, 0, -1, vcc
	v_cmp_eq_u32_e32 vcc, s13, v3
	v_subrev_co_u32_e64 v7, s[0:1], s12, v6
	v_cndmask_b32_e32 v3, v5, v8, vcc
	v_cmp_ne_u32_e32 vcc, 0, v4
	v_cndmask_b32_e32 v4, v6, v7, vcc
	v_cmp_ne_u32_e32 vcc, 0, v3
	v_cndmask_b32_e32 v2, v2, v4, vcc
                                        ; implicit-def: $vgpr4_vgpr5
.LBB8_7:
	s_andn2_saveexec_b64 s[0:1], s[2:3]
	s_cbranch_execz .LBB8_9
; %bb.8:
	v_cvt_f32_u32_e32 v2, s12
	s_sub_i32 s2, 0, s12
	v_rcp_iflag_f32_e32 v2, v2
	v_mul_f32_e32 v2, 0x4f7ffffe, v2
	v_cvt_u32_f32_e32 v2, v2
	v_mul_lo_u32 v3, s2, v2
	v_mul_hi_u32 v3, v2, v3
	v_add_u32_e32 v2, v2, v3
	v_mul_hi_u32 v2, v4, v2
	v_mul_lo_u32 v2, v2, s12
	v_sub_u32_e32 v2, v4, v2
	v_subrev_u32_e32 v3, s12, v2
	v_cmp_le_u32_e32 vcc, s12, v2
	v_cndmask_b32_e32 v2, v2, v3, vcc
	v_subrev_u32_e32 v3, s12, v2
	v_cmp_le_u32_e32 vcc, s12, v2
	v_cndmask_b32_e32 v2, v2, v3, vcc
.LBB8_9:
	s_or_b64 exec, exec, s[0:1]
	v_cvt_f32_u32_e32 v12, s24
	v_cvt_f32_u32_e32 v13, s25
	v_or_b32_e32 v4, s25, v1
	v_mov_b32_e32 v3, 0
	v_cmp_ne_u64_e32 vcc, 0, v[3:4]
                                        ; implicit-def: $vgpr3_vgpr4
	s_and_saveexec_b64 s[0:1], vcc
	s_xor_b64 s[2:3], exec, s[0:1]
	s_cbranch_execz .LBB8_11
; %bb.10:
	v_madmk_f32 v3, v13, 0x4f800000, v12
	v_rcp_f32_e32 v3, v3
	s_sub_u32 s6, 0, s24
	s_subb_u32 s7, 0, s25
	v_mul_f32_e32 v3, 0x5f7ffffc, v3
	v_mul_f32_e32 v4, 0x2f800000, v3
	v_trunc_f32_e32 v4, v4
	v_madmk_f32 v3, v4, 0xcf800000, v3
	v_cvt_u32_f32_e32 v4, v4
	v_cvt_u32_f32_e32 v3, v3
	v_readfirstlane_b32 s28, v4
	v_readfirstlane_b32 s0, v3
	s_mul_i32 s1, s6, s28
	s_mul_hi_u32 s30, s6, s0
	s_mul_i32 s29, s7, s0
	s_add_i32 s1, s30, s1
	s_add_i32 s1, s1, s29
	s_mul_i32 s31, s6, s0
	s_mul_i32 s30, s0, s1
	s_mul_hi_u32 s33, s0, s31
	s_mul_hi_u32 s29, s0, s1
	s_add_u32 s30, s33, s30
	s_addc_u32 s29, 0, s29
	s_mul_hi_u32 s34, s28, s31
	s_mul_i32 s31, s28, s31
	s_add_u32 s30, s30, s31
	s_mul_hi_u32 s33, s28, s1
	s_addc_u32 s29, s29, s34
	s_addc_u32 s30, s33, 0
	s_mul_i32 s1, s28, s1
	s_add_u32 s1, s29, s1
	s_addc_u32 s29, 0, s30
	s_add_u32 s30, s0, s1
	s_cselect_b64 s[0:1], -1, 0
	s_cmp_lg_u64 s[0:1], 0
	s_addc_u32 s28, s28, s29
	s_mul_i32 s0, s6, s28
	s_mul_hi_u32 s1, s6, s30
	s_add_i32 s0, s1, s0
	s_mul_i32 s7, s7, s30
	s_add_i32 s0, s0, s7
	s_mul_i32 s6, s6, s30
	s_mul_hi_u32 s7, s28, s6
	s_mul_i32 s29, s28, s6
	s_mul_i32 s33, s30, s0
	s_mul_hi_u32 s6, s30, s6
	s_mul_hi_u32 s31, s30, s0
	s_add_u32 s6, s6, s33
	s_addc_u32 s31, 0, s31
	s_add_u32 s6, s6, s29
	s_mul_hi_u32 s1, s28, s0
	s_addc_u32 s6, s31, s7
	s_addc_u32 s1, s1, 0
	s_mul_i32 s0, s28, s0
	s_add_u32 s0, s6, s0
	s_addc_u32 s6, 0, s1
	s_add_u32 s7, s30, s0
	s_cselect_b64 s[0:1], -1, 0
	s_cmp_lg_u64 s[0:1], 0
	s_addc_u32 s6, s28, s6
	v_mad_u64_u32 v[3:4], s[0:1], v0, s6, 0
	v_mul_hi_u32 v5, v0, s7
	v_add_co_u32_e32 v7, vcc, v5, v3
	v_addc_co_u32_e32 v8, vcc, 0, v4, vcc
	v_mad_u64_u32 v[3:4], s[0:1], v1, s7, 0
	v_mad_u64_u32 v[5:6], s[0:1], v1, s6, 0
	v_add_co_u32_e32 v3, vcc, v7, v3
	v_addc_co_u32_e32 v3, vcc, v8, v4, vcc
	v_addc_co_u32_e32 v4, vcc, 0, v6, vcc
	v_add_co_u32_e32 v5, vcc, v3, v5
	v_addc_co_u32_e32 v6, vcc, 0, v4, vcc
	v_mul_lo_u32 v7, s25, v5
	v_mul_lo_u32 v8, s24, v6
	v_mad_u64_u32 v[3:4], s[0:1], s24, v5, 0
	v_add3_u32 v4, v4, v8, v7
	v_sub_u32_e32 v7, v1, v4
	v_mov_b32_e32 v8, s25
	v_sub_co_u32_e32 v3, vcc, v0, v3
	v_subb_co_u32_e64 v7, s[0:1], v7, v8, vcc
	v_subrev_co_u32_e64 v8, s[0:1], s24, v3
	v_subbrev_co_u32_e64 v7, s[0:1], 0, v7, s[0:1]
	v_cmp_le_u32_e64 s[0:1], s25, v7
	v_cndmask_b32_e64 v9, 0, -1, s[0:1]
	v_cmp_le_u32_e64 s[0:1], s24, v8
	v_cndmask_b32_e64 v8, 0, -1, s[0:1]
	v_cmp_eq_u32_e64 s[0:1], s25, v7
	v_cndmask_b32_e64 v7, v9, v8, s[0:1]
	v_add_co_u32_e64 v8, s[0:1], 2, v5
	v_addc_co_u32_e64 v9, s[0:1], 0, v6, s[0:1]
	v_add_co_u32_e64 v10, s[0:1], 1, v5
	v_addc_co_u32_e64 v11, s[0:1], 0, v6, s[0:1]
	v_subb_co_u32_e32 v4, vcc, v1, v4, vcc
	v_cmp_ne_u32_e64 s[0:1], 0, v7
	v_cmp_le_u32_e32 vcc, s25, v4
	v_cndmask_b32_e64 v7, v11, v9, s[0:1]
	v_cndmask_b32_e64 v9, 0, -1, vcc
	v_cmp_le_u32_e32 vcc, s24, v3
	v_cndmask_b32_e64 v3, 0, -1, vcc
	v_cmp_eq_u32_e32 vcc, s25, v4
	v_cndmask_b32_e32 v3, v9, v3, vcc
	v_cmp_ne_u32_e32 vcc, 0, v3
	v_cndmask_b32_e64 v3, v10, v8, s[0:1]
	v_cndmask_b32_e32 v4, v6, v7, vcc
	v_cndmask_b32_e32 v3, v5, v3, vcc
.LBB8_11:
	s_or_saveexec_b64 s[0:1], s[2:3]
	v_cvt_f32_u32_e32 v14, s24
	s_xor_b64 exec, exec, s[0:1]
	s_cbranch_execz .LBB8_13
; %bb.12:
	v_rcp_iflag_f32_e32 v3, v14
	s_sub_i32 s2, 0, s24
	v_mul_f32_e32 v3, 0x4f7ffffe, v3
	v_cvt_u32_f32_e32 v3, v3
	v_mul_lo_u32 v4, s2, v3
	v_mul_hi_u32 v4, v3, v4
	v_add_u32_e32 v3, v3, v4
	v_mul_hi_u32 v3, v0, v3
	v_mul_lo_u32 v4, v3, s24
	v_add_u32_e32 v5, 1, v3
	v_sub_u32_e32 v4, v0, v4
	v_subrev_u32_e32 v6, s24, v4
	v_cmp_le_u32_e32 vcc, s24, v4
	v_cndmask_b32_e32 v4, v4, v6, vcc
	v_cndmask_b32_e32 v3, v3, v5, vcc
	v_add_u32_e32 v5, 1, v3
	v_cmp_le_u32_e32 vcc, s24, v4
	v_cndmask_b32_e32 v3, v3, v5, vcc
	v_mov_b32_e32 v4, 0
.LBB8_13:
	s_or_b64 exec, exec, s[0:1]
	v_cvt_f32_u32_e32 v9, s22
	v_cvt_f32_u32_e32 v10, s23
	v_or_b32_e32 v6, s23, v1
	v_mov_b32_e32 v5, 0
	v_cmp_ne_u64_e32 vcc, 0, v[5:6]
                                        ; implicit-def: $vgpr5_vgpr6
	s_and_saveexec_b64 s[0:1], vcc
	s_xor_b64 s[2:3], exec, s[0:1]
	s_cbranch_execz .LBB8_15
; %bb.14:
	v_madmk_f32 v5, v10, 0x4f800000, v9
	v_rcp_f32_e32 v5, v5
	s_sub_u32 s6, 0, s22
	s_subb_u32 s7, 0, s23
	v_mul_f32_e32 v5, 0x5f7ffffc, v5
	v_mul_f32_e32 v6, 0x2f800000, v5
	v_trunc_f32_e32 v6, v6
	v_madmk_f32 v5, v6, 0xcf800000, v5
	v_cvt_u32_f32_e32 v6, v6
	v_cvt_u32_f32_e32 v5, v5
	v_readfirstlane_b32 s28, v6
	v_readfirstlane_b32 s0, v5
	s_mul_i32 s1, s6, s28
	s_mul_hi_u32 s30, s6, s0
	s_mul_i32 s29, s7, s0
	s_add_i32 s1, s30, s1
	s_add_i32 s1, s1, s29
	s_mul_i32 s31, s6, s0
	s_mul_i32 s30, s0, s1
	s_mul_hi_u32 s33, s0, s31
	s_mul_hi_u32 s29, s0, s1
	s_add_u32 s30, s33, s30
	s_addc_u32 s29, 0, s29
	s_mul_hi_u32 s34, s28, s31
	s_mul_i32 s31, s28, s31
	s_add_u32 s30, s30, s31
	s_mul_hi_u32 s33, s28, s1
	s_addc_u32 s29, s29, s34
	s_addc_u32 s30, s33, 0
	s_mul_i32 s1, s28, s1
	s_add_u32 s1, s29, s1
	s_addc_u32 s29, 0, s30
	s_add_u32 s30, s0, s1
	s_cselect_b64 s[0:1], -1, 0
	s_cmp_lg_u64 s[0:1], 0
	s_addc_u32 s28, s28, s29
	s_mul_i32 s0, s6, s28
	s_mul_hi_u32 s1, s6, s30
	s_add_i32 s0, s1, s0
	s_mul_i32 s7, s7, s30
	s_add_i32 s0, s0, s7
	s_mul_i32 s6, s6, s30
	s_mul_hi_u32 s7, s28, s6
	s_mul_i32 s29, s28, s6
	s_mul_i32 s33, s30, s0
	s_mul_hi_u32 s6, s30, s6
	s_mul_hi_u32 s31, s30, s0
	s_add_u32 s6, s6, s33
	s_addc_u32 s31, 0, s31
	s_add_u32 s6, s6, s29
	s_mul_hi_u32 s1, s28, s0
	s_addc_u32 s6, s31, s7
	s_addc_u32 s1, s1, 0
	s_mul_i32 s0, s28, s0
	s_add_u32 s0, s6, s0
	s_addc_u32 s6, 0, s1
	s_add_u32 s7, s30, s0
	s_cselect_b64 s[0:1], -1, 0
	s_cmp_lg_u64 s[0:1], 0
	s_addc_u32 s6, s28, s6
	v_mad_u64_u32 v[5:6], s[0:1], v0, s6, 0
	v_mul_hi_u32 v7, v0, s7
	v_add_co_u32_e32 v11, vcc, v7, v5
	v_addc_co_u32_e32 v15, vcc, 0, v6, vcc
	v_mad_u64_u32 v[5:6], s[0:1], v1, s7, 0
	v_mad_u64_u32 v[7:8], s[0:1], v1, s6, 0
	v_add_co_u32_e32 v5, vcc, v11, v5
	v_addc_co_u32_e32 v5, vcc, v15, v6, vcc
	v_addc_co_u32_e32 v6, vcc, 0, v8, vcc
	v_add_co_u32_e32 v7, vcc, v5, v7
	v_addc_co_u32_e32 v8, vcc, 0, v6, vcc
	v_mul_lo_u32 v11, s23, v7
	v_mul_lo_u32 v15, s22, v8
	v_mad_u64_u32 v[5:6], s[0:1], s22, v7, 0
	v_add3_u32 v6, v6, v15, v11
	v_sub_u32_e32 v11, v1, v6
	v_mov_b32_e32 v15, s23
	v_sub_co_u32_e32 v5, vcc, v0, v5
	v_subb_co_u32_e64 v11, s[0:1], v11, v15, vcc
	v_subrev_co_u32_e64 v15, s[0:1], s22, v5
	v_subbrev_co_u32_e64 v11, s[0:1], 0, v11, s[0:1]
	v_cmp_le_u32_e64 s[0:1], s23, v11
	v_cndmask_b32_e64 v16, 0, -1, s[0:1]
	v_cmp_le_u32_e64 s[0:1], s22, v15
	v_cndmask_b32_e64 v15, 0, -1, s[0:1]
	v_cmp_eq_u32_e64 s[0:1], s23, v11
	v_cndmask_b32_e64 v11, v16, v15, s[0:1]
	v_add_co_u32_e64 v15, s[0:1], 2, v7
	v_addc_co_u32_e64 v16, s[0:1], 0, v8, s[0:1]
	v_add_co_u32_e64 v17, s[0:1], 1, v7
	v_addc_co_u32_e64 v18, s[0:1], 0, v8, s[0:1]
	v_subb_co_u32_e32 v6, vcc, v1, v6, vcc
	v_cmp_ne_u32_e64 s[0:1], 0, v11
	v_cmp_le_u32_e32 vcc, s23, v6
	v_cndmask_b32_e64 v11, v18, v16, s[0:1]
	v_cndmask_b32_e64 v16, 0, -1, vcc
	v_cmp_le_u32_e32 vcc, s22, v5
	v_cndmask_b32_e64 v5, 0, -1, vcc
	v_cmp_eq_u32_e32 vcc, s23, v6
	v_cndmask_b32_e32 v5, v16, v5, vcc
	v_cmp_ne_u32_e32 vcc, 0, v5
	v_cndmask_b32_e64 v5, v17, v15, s[0:1]
	v_cndmask_b32_e32 v6, v8, v11, vcc
	v_cndmask_b32_e32 v5, v7, v5, vcc
.LBB8_15:
	s_or_saveexec_b64 s[0:1], s[2:3]
	v_cvt_f32_u32_e32 v11, s22
	s_xor_b64 exec, exec, s[0:1]
	s_cbranch_execz .LBB8_17
; %bb.16:
	v_rcp_iflag_f32_e32 v5, v11
	s_sub_i32 s2, 0, s22
	v_mul_f32_e32 v5, 0x4f7ffffe, v5
	v_cvt_u32_f32_e32 v5, v5
	v_mul_lo_u32 v6, s2, v5
	v_mul_hi_u32 v6, v5, v6
	v_add_u32_e32 v5, v5, v6
	v_mul_hi_u32 v5, v0, v5
	v_mul_lo_u32 v6, v5, s22
	v_add_u32_e32 v7, 1, v5
	v_sub_u32_e32 v6, v0, v6
	v_subrev_u32_e32 v8, s22, v6
	v_cmp_le_u32_e32 vcc, s22, v6
	v_cndmask_b32_e32 v6, v6, v8, vcc
	v_cndmask_b32_e32 v5, v5, v7, vcc
	v_add_u32_e32 v7, 1, v5
	v_cmp_le_u32_e32 vcc, s22, v6
	v_cndmask_b32_e32 v5, v5, v7, vcc
	v_mov_b32_e32 v6, 0
.LBB8_17:
	s_or_b64 exec, exec, s[0:1]
	v_or_b32_e32 v8, s25, v6
	v_mov_b32_e32 v7, 0
	v_cmp_ne_u64_e32 vcc, 0, v[7:8]
                                        ; implicit-def: $vgpr7_vgpr8
	s_and_saveexec_b64 s[0:1], vcc
	s_xor_b64 s[2:3], exec, s[0:1]
	s_cbranch_execz .LBB8_19
; %bb.18:
	v_madmk_f32 v7, v13, 0x4f800000, v12
	v_rcp_f32_e32 v7, v7
	s_sub_u32 s6, 0, s24
	s_subb_u32 s7, 0, s25
	v_mul_f32_e32 v7, 0x5f7ffffc, v7
	v_mul_f32_e32 v8, 0x2f800000, v7
	v_trunc_f32_e32 v8, v8
	v_madmk_f32 v7, v8, 0xcf800000, v7
	v_cvt_u32_f32_e32 v8, v8
	v_cvt_u32_f32_e32 v7, v7
	v_readfirstlane_b32 s28, v8
	v_readfirstlane_b32 s0, v7
	s_mul_i32 s1, s6, s28
	s_mul_hi_u32 s30, s6, s0
	s_mul_i32 s29, s7, s0
	s_add_i32 s1, s30, s1
	s_add_i32 s1, s1, s29
	s_mul_i32 s31, s6, s0
	s_mul_i32 s30, s0, s1
	s_mul_hi_u32 s33, s0, s31
	s_mul_hi_u32 s29, s0, s1
	s_add_u32 s30, s33, s30
	s_addc_u32 s29, 0, s29
	s_mul_hi_u32 s34, s28, s31
	s_mul_i32 s31, s28, s31
	s_add_u32 s30, s30, s31
	s_mul_hi_u32 s33, s28, s1
	s_addc_u32 s29, s29, s34
	s_addc_u32 s30, s33, 0
	s_mul_i32 s1, s28, s1
	s_add_u32 s1, s29, s1
	s_addc_u32 s29, 0, s30
	s_add_u32 s30, s0, s1
	s_cselect_b64 s[0:1], -1, 0
	s_cmp_lg_u64 s[0:1], 0
	s_addc_u32 s28, s28, s29
	s_mul_i32 s0, s6, s28
	s_mul_hi_u32 s1, s6, s30
	s_add_i32 s0, s1, s0
	s_mul_i32 s7, s7, s30
	s_add_i32 s0, s0, s7
	s_mul_i32 s6, s6, s30
	s_mul_hi_u32 s7, s28, s6
	s_mul_i32 s29, s28, s6
	s_mul_i32 s33, s30, s0
	s_mul_hi_u32 s6, s30, s6
	s_mul_hi_u32 s31, s30, s0
	s_add_u32 s6, s6, s33
	s_addc_u32 s31, 0, s31
	s_add_u32 s6, s6, s29
	s_mul_hi_u32 s1, s28, s0
	s_addc_u32 s6, s31, s7
	s_addc_u32 s1, s1, 0
	s_mul_i32 s0, s28, s0
	s_add_u32 s0, s6, s0
	s_addc_u32 s6, 0, s1
	s_add_u32 s7, s30, s0
	s_cselect_b64 s[0:1], -1, 0
	s_cmp_lg_u64 s[0:1], 0
	s_addc_u32 s6, s28, s6
	v_mad_u64_u32 v[7:8], s[0:1], v5, s6, 0
	v_mul_hi_u32 v12, v5, s7
	v_add_co_u32_e32 v14, vcc, v12, v7
	v_addc_co_u32_e32 v15, vcc, 0, v8, vcc
	v_mad_u64_u32 v[7:8], s[0:1], v6, s7, 0
	v_mad_u64_u32 v[12:13], s[0:1], v6, s6, 0
	v_add_co_u32_e32 v7, vcc, v14, v7
	v_addc_co_u32_e32 v7, vcc, v15, v8, vcc
	v_addc_co_u32_e32 v8, vcc, 0, v13, vcc
	v_add_co_u32_e32 v12, vcc, v7, v12
	v_addc_co_u32_e32 v13, vcc, 0, v8, vcc
	v_mul_lo_u32 v14, s25, v12
	v_mul_lo_u32 v15, s24, v13
	v_mad_u64_u32 v[7:8], s[0:1], s24, v12, 0
	v_add3_u32 v8, v8, v15, v14
	v_sub_u32_e32 v14, v6, v8
	v_mov_b32_e32 v15, s25
	v_sub_co_u32_e32 v5, vcc, v5, v7
	v_subb_co_u32_e64 v7, s[0:1], v14, v15, vcc
	v_subrev_co_u32_e64 v14, s[0:1], s24, v5
	v_subbrev_co_u32_e64 v7, s[0:1], 0, v7, s[0:1]
	v_cmp_le_u32_e64 s[0:1], s25, v7
	v_cndmask_b32_e64 v15, 0, -1, s[0:1]
	v_cmp_le_u32_e64 s[0:1], s24, v14
	v_cndmask_b32_e64 v14, 0, -1, s[0:1]
	v_cmp_eq_u32_e64 s[0:1], s25, v7
	v_cndmask_b32_e64 v7, v15, v14, s[0:1]
	v_add_co_u32_e64 v14, s[0:1], 2, v12
	v_subb_co_u32_e32 v6, vcc, v6, v8, vcc
	v_addc_co_u32_e64 v15, s[0:1], 0, v13, s[0:1]
	v_cmp_le_u32_e32 vcc, s25, v6
	v_add_co_u32_e64 v16, s[0:1], 1, v12
	v_cndmask_b32_e64 v8, 0, -1, vcc
	v_cmp_le_u32_e32 vcc, s24, v5
	v_addc_co_u32_e64 v17, s[0:1], 0, v13, s[0:1]
	v_cndmask_b32_e64 v5, 0, -1, vcc
	v_cmp_eq_u32_e32 vcc, s25, v6
	v_cmp_ne_u32_e64 s[0:1], 0, v7
	v_cndmask_b32_e32 v5, v8, v5, vcc
	v_cndmask_b32_e64 v7, v17, v15, s[0:1]
	v_cmp_ne_u32_e32 vcc, 0, v5
	v_cndmask_b32_e64 v5, v16, v14, s[0:1]
	v_cndmask_b32_e32 v8, v13, v7, vcc
	v_cndmask_b32_e32 v7, v12, v5, vcc
                                        ; implicit-def: $vgpr14
                                        ; implicit-def: $vgpr5_vgpr6
.LBB8_19:
	s_andn2_saveexec_b64 s[0:1], s[2:3]
	s_cbranch_execz .LBB8_21
; %bb.20:
	v_rcp_iflag_f32_e32 v6, v14
	s_sub_i32 s2, 0, s24
	v_mul_f32_e32 v6, 0x4f7ffffe, v6
	v_cvt_u32_f32_e32 v6, v6
	v_mul_lo_u32 v7, s2, v6
	v_mul_hi_u32 v7, v6, v7
	v_add_u32_e32 v6, v6, v7
	v_mul_hi_u32 v6, v5, v6
	v_mul_lo_u32 v7, v6, s24
	v_add_u32_e32 v8, 1, v6
	v_sub_u32_e32 v5, v5, v7
	v_subrev_u32_e32 v7, s24, v5
	v_cmp_le_u32_e32 vcc, s24, v5
	v_cndmask_b32_e32 v5, v5, v7, vcc
	v_cndmask_b32_e32 v6, v6, v8, vcc
	v_add_u32_e32 v7, 1, v6
	v_cmp_le_u32_e32 vcc, s24, v5
	v_cndmask_b32_e32 v7, v6, v7, vcc
	v_mov_b32_e32 v8, 0
.LBB8_21:
	s_or_b64 exec, exec, s[0:1]
	v_or_b32_e32 v6, s21, v8
	v_mov_b32_e32 v5, 0
	v_cmp_ne_u64_e32 vcc, 0, v[5:6]
                                        ; implicit-def: $vgpr5_vgpr6
	s_and_saveexec_b64 s[0:1], vcc
	s_xor_b64 s[2:3], exec, s[0:1]
	s_cbranch_execz .LBB8_23
; %bb.22:
	v_cvt_f32_u32_e32 v5, s20
	v_cvt_f32_u32_e32 v6, s21
	s_sub_u32 s6, 0, s20
	s_subb_u32 s7, 0, s21
	v_madmk_f32 v5, v6, 0x4f800000, v5
	v_rcp_f32_e32 v5, v5
	v_mul_f32_e32 v5, 0x5f7ffffc, v5
	v_mul_f32_e32 v6, 0x2f800000, v5
	v_trunc_f32_e32 v6, v6
	v_madmk_f32 v5, v6, 0xcf800000, v5
	v_cvt_u32_f32_e32 v6, v6
	v_cvt_u32_f32_e32 v5, v5
	v_readfirstlane_b32 s28, v6
	v_readfirstlane_b32 s0, v5
	s_mul_i32 s1, s6, s28
	s_mul_hi_u32 s30, s6, s0
	s_mul_i32 s29, s7, s0
	s_add_i32 s1, s30, s1
	s_mul_i32 s31, s6, s0
	s_add_i32 s1, s1, s29
	s_mul_i32 s30, s0, s1
	s_mul_hi_u32 s33, s0, s31
	s_mul_hi_u32 s29, s0, s1
	s_add_u32 s30, s33, s30
	s_addc_u32 s29, 0, s29
	s_mul_hi_u32 s34, s28, s31
	s_mul_i32 s31, s28, s31
	s_add_u32 s30, s30, s31
	s_mul_hi_u32 s33, s28, s1
	s_addc_u32 s29, s29, s34
	s_addc_u32 s30, s33, 0
	s_mul_i32 s1, s28, s1
	s_add_u32 s1, s29, s1
	s_addc_u32 s29, 0, s30
	s_add_u32 s30, s0, s1
	s_cselect_b64 s[0:1], -1, 0
	s_cmp_lg_u64 s[0:1], 0
	s_addc_u32 s28, s28, s29
	s_mul_i32 s0, s6, s28
	s_mul_hi_u32 s1, s6, s30
	s_add_i32 s0, s1, s0
	s_mul_i32 s7, s7, s30
	s_add_i32 s0, s0, s7
	s_mul_i32 s6, s6, s30
	s_mul_hi_u32 s7, s28, s6
	s_mul_i32 s29, s28, s6
	s_mul_i32 s33, s30, s0
	s_mul_hi_u32 s6, s30, s6
	s_mul_hi_u32 s31, s30, s0
	s_add_u32 s6, s6, s33
	s_addc_u32 s31, 0, s31
	s_add_u32 s6, s6, s29
	s_mul_hi_u32 s1, s28, s0
	s_addc_u32 s6, s31, s7
	s_addc_u32 s1, s1, 0
	s_mul_i32 s0, s28, s0
	s_add_u32 s0, s6, s0
	s_addc_u32 s6, 0, s1
	s_add_u32 s7, s30, s0
	s_cselect_b64 s[0:1], -1, 0
	s_cmp_lg_u64 s[0:1], 0
	s_addc_u32 s6, s28, s6
	v_mad_u64_u32 v[5:6], s[0:1], v7, s6, 0
	v_mul_hi_u32 v12, v7, s7
	v_add_co_u32_e32 v14, vcc, v12, v5
	v_addc_co_u32_e32 v15, vcc, 0, v6, vcc
	v_mad_u64_u32 v[5:6], s[0:1], v8, s7, 0
	v_mad_u64_u32 v[12:13], s[0:1], v8, s6, 0
	v_add_co_u32_e32 v5, vcc, v14, v5
	v_addc_co_u32_e32 v5, vcc, v15, v6, vcc
	v_addc_co_u32_e32 v6, vcc, 0, v13, vcc
	v_add_co_u32_e32 v5, vcc, v5, v12
	v_addc_co_u32_e32 v6, vcc, 0, v6, vcc
	v_mul_lo_u32 v12, s21, v5
	v_mul_lo_u32 v13, s20, v6
	v_mad_u64_u32 v[5:6], s[0:1], s20, v5, 0
	v_add3_u32 v6, v6, v13, v12
	v_sub_u32_e32 v12, v8, v6
	v_mov_b32_e32 v13, s21
	v_sub_co_u32_e32 v5, vcc, v7, v5
	v_subb_co_u32_e64 v7, s[0:1], v12, v13, vcc
	v_subrev_co_u32_e64 v12, s[0:1], s20, v5
	v_subbrev_co_u32_e64 v7, s[0:1], 0, v7, s[0:1]
	v_cmp_le_u32_e64 s[0:1], s21, v7
	v_subb_co_u32_e32 v6, vcc, v8, v6, vcc
	v_cndmask_b32_e64 v13, 0, -1, s[0:1]
	v_cmp_le_u32_e64 s[0:1], s20, v12
	v_cmp_le_u32_e32 vcc, s21, v6
	v_cndmask_b32_e64 v14, 0, -1, s[0:1]
	v_cmp_eq_u32_e64 s[0:1], s21, v7
	v_cndmask_b32_e64 v8, 0, -1, vcc
	v_cmp_le_u32_e32 vcc, s20, v5
	v_cndmask_b32_e64 v7, v13, v14, s[0:1]
	v_cndmask_b32_e64 v14, 0, -1, vcc
	v_cmp_eq_u32_e32 vcc, s21, v6
	v_subrev_co_u32_e64 v13, s[0:1], s20, v12
	v_cndmask_b32_e32 v6, v8, v14, vcc
	v_cmp_ne_u32_e32 vcc, 0, v7
	v_cndmask_b32_e32 v7, v12, v13, vcc
	v_cmp_ne_u32_e32 vcc, 0, v6
	v_cndmask_b32_e32 v5, v5, v7, vcc
                                        ; implicit-def: $vgpr7_vgpr8
.LBB8_23:
	s_andn2_saveexec_b64 s[0:1], s[2:3]
	s_cbranch_execz .LBB8_25
; %bb.24:
	v_cvt_f32_u32_e32 v5, s20
	s_sub_i32 s2, 0, s20
	v_rcp_iflag_f32_e32 v5, v5
	v_mul_f32_e32 v5, 0x4f7ffffe, v5
	v_cvt_u32_f32_e32 v5, v5
	v_mul_lo_u32 v6, s2, v5
	v_mul_hi_u32 v6, v5, v6
	v_add_u32_e32 v5, v5, v6
	v_mul_hi_u32 v5, v7, v5
	v_mul_lo_u32 v5, v5, s20
	v_sub_u32_e32 v5, v7, v5
	v_subrev_u32_e32 v6, s20, v5
	v_cmp_le_u32_e32 vcc, s20, v5
	v_cndmask_b32_e32 v5, v5, v6, vcc
	v_subrev_u32_e32 v6, s20, v5
	v_cmp_le_u32_e32 vcc, s20, v5
	v_cndmask_b32_e32 v5, v5, v6, vcc
.LBB8_25:
	s_or_b64 exec, exec, s[0:1]
	v_or_b32_e32 v7, s23, v4
	v_mov_b32_e32 v6, 0
	v_cmp_ne_u64_e32 vcc, 0, v[6:7]
                                        ; implicit-def: $vgpr6_vgpr7
	s_and_saveexec_b64 s[0:1], vcc
	s_xor_b64 s[2:3], exec, s[0:1]
	s_cbranch_execz .LBB8_27
; %bb.26:
	v_madmk_f32 v6, v10, 0x4f800000, v9
	v_rcp_f32_e32 v6, v6
	s_sub_u32 s6, 0, s22
	s_subb_u32 s7, 0, s23
	v_mul_f32_e32 v6, 0x5f7ffffc, v6
	v_mul_f32_e32 v7, 0x2f800000, v6
	v_trunc_f32_e32 v7, v7
	v_madmk_f32 v6, v7, 0xcf800000, v6
	v_cvt_u32_f32_e32 v7, v7
	v_cvt_u32_f32_e32 v6, v6
	v_readfirstlane_b32 s28, v7
	v_readfirstlane_b32 s0, v6
	s_mul_i32 s1, s6, s28
	s_mul_hi_u32 s30, s6, s0
	s_mul_i32 s29, s7, s0
	s_add_i32 s1, s30, s1
	s_add_i32 s1, s1, s29
	s_mul_i32 s31, s6, s0
	s_mul_i32 s30, s0, s1
	s_mul_hi_u32 s33, s0, s31
	s_mul_hi_u32 s29, s0, s1
	s_add_u32 s30, s33, s30
	s_addc_u32 s29, 0, s29
	s_mul_hi_u32 s34, s28, s31
	s_mul_i32 s31, s28, s31
	s_add_u32 s30, s30, s31
	s_mul_hi_u32 s33, s28, s1
	s_addc_u32 s29, s29, s34
	s_addc_u32 s30, s33, 0
	s_mul_i32 s1, s28, s1
	s_add_u32 s1, s29, s1
	s_addc_u32 s29, 0, s30
	s_add_u32 s30, s0, s1
	s_cselect_b64 s[0:1], -1, 0
	s_cmp_lg_u64 s[0:1], 0
	s_addc_u32 s28, s28, s29
	s_mul_i32 s0, s6, s28
	s_mul_hi_u32 s1, s6, s30
	s_add_i32 s0, s1, s0
	s_mul_i32 s7, s7, s30
	s_add_i32 s0, s0, s7
	s_mul_i32 s6, s6, s30
	s_mul_hi_u32 s7, s28, s6
	s_mul_i32 s29, s28, s6
	s_mul_i32 s33, s30, s0
	s_mul_hi_u32 s6, s30, s6
	s_mul_hi_u32 s31, s30, s0
	s_add_u32 s6, s6, s33
	s_addc_u32 s31, 0, s31
	s_add_u32 s6, s6, s29
	s_mul_hi_u32 s1, s28, s0
	s_addc_u32 s6, s31, s7
	s_addc_u32 s1, s1, 0
	s_mul_i32 s0, s28, s0
	s_add_u32 s0, s6, s0
	s_addc_u32 s6, 0, s1
	s_add_u32 s7, s30, s0
	s_cselect_b64 s[0:1], -1, 0
	s_cmp_lg_u64 s[0:1], 0
	s_addc_u32 s6, s28, s6
	v_mad_u64_u32 v[6:7], s[0:1], v3, s6, 0
	v_mul_hi_u32 v8, v3, s7
	v_add_co_u32_e32 v10, vcc, v8, v6
	v_addc_co_u32_e32 v11, vcc, 0, v7, vcc
	v_mad_u64_u32 v[6:7], s[0:1], v4, s7, 0
	v_mad_u64_u32 v[8:9], s[0:1], v4, s6, 0
	v_add_co_u32_e32 v6, vcc, v10, v6
	v_addc_co_u32_e32 v6, vcc, v11, v7, vcc
	v_addc_co_u32_e32 v7, vcc, 0, v9, vcc
	v_add_co_u32_e32 v6, vcc, v6, v8
	v_addc_co_u32_e32 v7, vcc, 0, v7, vcc
	v_mul_lo_u32 v8, s23, v6
	v_mul_lo_u32 v9, s22, v7
	v_mad_u64_u32 v[6:7], s[0:1], s22, v6, 0
	v_add3_u32 v7, v7, v9, v8
	v_sub_u32_e32 v8, v4, v7
	v_mov_b32_e32 v9, s23
	v_sub_co_u32_e32 v6, vcc, v3, v6
	v_subb_co_u32_e64 v8, s[0:1], v8, v9, vcc
	v_subrev_co_u32_e64 v9, s[0:1], s22, v6
	v_subbrev_co_u32_e64 v8, s[0:1], 0, v8, s[0:1]
	v_cmp_le_u32_e64 s[0:1], s23, v8
	v_subb_co_u32_e32 v4, vcc, v4, v7, vcc
	v_cndmask_b32_e64 v10, 0, -1, s[0:1]
	v_cmp_le_u32_e64 s[0:1], s22, v9
	v_cmp_le_u32_e32 vcc, s23, v4
	v_cndmask_b32_e64 v11, 0, -1, s[0:1]
	v_cmp_eq_u32_e64 s[0:1], s23, v8
	v_cndmask_b32_e64 v7, 0, -1, vcc
	v_cmp_le_u32_e32 vcc, s22, v6
	v_cndmask_b32_e64 v8, v10, v11, s[0:1]
	v_cndmask_b32_e64 v11, 0, -1, vcc
	v_cmp_eq_u32_e32 vcc, s23, v4
	v_subrev_co_u32_e64 v10, s[0:1], s22, v9
	v_cndmask_b32_e32 v4, v7, v11, vcc
	v_cmp_ne_u32_e32 vcc, 0, v8
	v_cndmask_b32_e32 v7, v9, v10, vcc
	v_cmp_ne_u32_e32 vcc, 0, v4
	v_cndmask_b32_e32 v6, v6, v7, vcc
                                        ; implicit-def: $vgpr11
.LBB8_27:
	s_andn2_saveexec_b64 s[0:1], s[2:3]
	s_cbranch_execz .LBB8_29
; %bb.28:
	v_rcp_iflag_f32_e32 v4, v11
	s_sub_i32 s2, 0, s22
	v_mul_f32_e32 v4, 0x4f7ffffe, v4
	v_cvt_u32_f32_e32 v4, v4
	v_mul_lo_u32 v6, s2, v4
	v_mul_hi_u32 v6, v4, v6
	v_add_u32_e32 v4, v4, v6
	v_mul_hi_u32 v4, v3, v4
	v_mul_lo_u32 v4, v4, s22
	v_sub_u32_e32 v4, v3, v4
	v_subrev_u32_e32 v6, s22, v4
	v_cmp_le_u32_e32 vcc, s22, v4
	v_cndmask_b32_e32 v4, v4, v6, vcc
	v_subrev_u32_e32 v6, s22, v4
	v_cmp_le_u32_e32 vcc, s22, v4
	v_cndmask_b32_e32 v6, v4, v6, vcc
.LBB8_29:
	s_or_b64 exec, exec, s[0:1]
	s_load_dwordx4 s[0:3], s[4:5], 0x50
	v_cvt_f32_i32_e32 v4, v5
	v_mul_lo_u32 v3, v3, s24
	v_cvt_f32_i32_e32 v6, v6
	s_waitcnt lgkmcnt(0)
	s_add_i32 s3, s14, -1
	v_add_f32_e32 v4, 0.5, v4
	v_sub_u32_e32 v3, v0, v3
	v_mul_f32_e32 v4, s0, v4
	v_cvt_f32_i32_e32 v3, v3
	v_floor_f32_e32 v4, v4
	v_cvt_i32_f32_e32 v4, v4
	s_mul_i32 s0, s18, s17
	v_add_f32_e32 v3, 0.5, v3
	s_mul_hi_u32 s4, s18, s16
	v_mul_f32_e32 v3, s2, v3
	s_add_i32 s0, s4, s0
	v_min_i32_e32 v7, s3, v4
	s_mul_i32 s3, s19, s16
	v_floor_f32_e32 v3, v3
	s_add_i32 s0, s0, s3
	s_mul_i32 s3, s18, s16
	v_cvt_i32_f32_e32 v3, v3
	s_mul_i32 s4, s3, s15
	s_mul_hi_u32 s5, s3, s14
	v_add_f32_e32 v6, 0.5, v6
	s_add_i32 s4, s5, s4
	s_mul_i32 s0, s0, s14
	v_mul_f32_e32 v6, s1, v6
	s_add_i32 s4, s4, s0
	s_add_i32 s0, s18, -1
	v_floor_f32_e32 v6, v6
	v_min_i32_e32 v3, s0, v3
	v_cvt_i32_f32_e32 v6, v6
	s_mul_i32 s2, s3, s14
	v_ashrrev_i32_e32 v4, 31, v3
	v_ashrrev_i32_e32 v5, 31, v2
	v_mul_lo_u32 v9, v2, s4
	v_mad_u64_u32 v[2:3], s[0:1], v2, s2, v[3:4]
	s_add_i32 s0, s16, -1
	v_min_i32_e32 v4, s0, v6
	v_mul_lo_u32 v10, v5, s2
	v_ashrrev_i32_e32 v5, 31, v4
	v_mad_u64_u32 v[4:5], s[0:1], s16, v7, v[4:5]
	v_add3_u32 v3, v10, v3, v9
	v_ashrrev_i32_e32 v8, 31, v7
	v_mad_u64_u32 v[2:3], s[0:1], v4, s18, v[2:3]
	s_mul_i32 s0, s2, s13
	s_mul_hi_u32 s1, s2, s12
	s_mul_i32 s4, s4, s12
	s_add_i32 s0, s1, s0
	v_mul_lo_u32 v6, s16, v8
	v_mul_lo_u32 v7, s17, v7
	s_add_i32 s7, s0, s4
	s_mul_i32 s0, s24, s23
	s_mul_hi_u32 s1, s24, s22
	s_add_i32 s0, s1, s0
	s_mul_i32 s1, s25, s22
	s_add_i32 s0, s0, s1
	s_mul_i32 s1, s24, s22
	s_mul_i32 s6, s2, s12
	;; [unrolled: 1-line block ×3, first 2 shown]
	s_mul_hi_u32 s3, s1, s20
	v_add3_u32 v5, v7, v5, v6
	s_add_i32 s2, s3, s2
	s_mul_i32 s0, s0, s20
	v_mul_lo_u32 v5, v5, s18
	v_mul_lo_u32 v4, v4, s19
	s_add_i32 s0, s2, s0
	s_mul_i32 s2, s1, s20
	s_mul_i32 s1, s2, s13
	s_mul_hi_u32 s3, s2, s12
	v_lshlrev_b64 v[0:1], 1, v[0:1]
	s_mul_i32 s0, s0, s12
	s_add_i32 s1, s3, s1
	s_add_i32 s1, s1, s0
	s_mul_i32 s0, s2, s12
	v_add3_u32 v3, v5, v3, v4
	v_mov_b32_e32 v4, s27
	v_add_co_u32_e32 v0, vcc, s26, v0
	s_lshl_b64 s[2:3], s[0:1], 1
	v_addc_co_u32_e32 v1, vcc, v4, v1, vcc
	s_mov_b64 s[4:5], 0
	v_mov_b32_e32 v4, s9
	v_mov_b32_e32 v5, s7
	;; [unrolled: 1-line block ×3, first 2 shown]
.LBB8_30:                               ; =>This Inner Loop Header: Depth=1
	v_lshlrev_b64 v[7:8], 1, v[2:3]
	s_add_u32 s4, s4, 1
	v_add_co_u32_e32 v7, vcc, s8, v7
	v_addc_co_u32_e32 v8, vcc, v4, v8, vcc
	global_load_ushort v9, v[7:8], off
	s_addc_u32 s5, s5, 0
	v_add_co_u32_e32 v2, vcc, s6, v2
	v_mov_b32_e32 v8, s5
	v_addc_co_u32_e32 v3, vcc, v3, v5, vcc
	v_mov_b32_e32 v7, s4
	v_cmp_gt_u64_e32 vcc, s[10:11], v[7:8]
	s_and_b64 vcc, exec, vcc
	s_waitcnt vmcnt(0)
	global_store_short v[0:1], v9, off
	v_add_co_u32_e64 v0, s[0:1], s2, v0
	v_addc_co_u32_e64 v1, s[0:1], v1, v6, s[0:1]
	s_cbranch_vccnz .LBB8_30
.LBB8_31:
	s_endpgm
	.section	.rodata,"a",@progbits
	.p2align	6, 0x0
	.amdhsa_kernel _ZN2at6native12_GLOBAL__N_128upsample_nearest3d_out_frameIN3c108BFloat16EXadL_ZNS0_43nearest_neighbor_exact_compute_source_indexEfiiEEEEvPKT_mmmmmmmmPS5_fff
		.amdhsa_group_segment_fixed_size 0
		.amdhsa_private_segment_fixed_size 0
		.amdhsa_kernarg_size 352
		.amdhsa_user_sgpr_count 6
		.amdhsa_user_sgpr_private_segment_buffer 1
		.amdhsa_user_sgpr_dispatch_ptr 0
		.amdhsa_user_sgpr_queue_ptr 0
		.amdhsa_user_sgpr_kernarg_segment_ptr 1
		.amdhsa_user_sgpr_dispatch_id 0
		.amdhsa_user_sgpr_flat_scratch_init 0
		.amdhsa_user_sgpr_private_segment_size 0
		.amdhsa_uses_dynamic_stack 0
		.amdhsa_system_sgpr_private_segment_wavefront_offset 0
		.amdhsa_system_sgpr_workgroup_id_x 1
		.amdhsa_system_sgpr_workgroup_id_y 0
		.amdhsa_system_sgpr_workgroup_id_z 0
		.amdhsa_system_sgpr_workgroup_info 0
		.amdhsa_system_vgpr_workitem_id 0
		.amdhsa_next_free_vgpr 19
		.amdhsa_next_free_sgpr 39
		.amdhsa_reserve_vcc 1
		.amdhsa_reserve_flat_scratch 0
		.amdhsa_float_round_mode_32 0
		.amdhsa_float_round_mode_16_64 0
		.amdhsa_float_denorm_mode_32 3
		.amdhsa_float_denorm_mode_16_64 3
		.amdhsa_dx10_clamp 1
		.amdhsa_ieee_mode 1
		.amdhsa_fp16_overflow 0
		.amdhsa_exception_fp_ieee_invalid_op 0
		.amdhsa_exception_fp_denorm_src 0
		.amdhsa_exception_fp_ieee_div_zero 0
		.amdhsa_exception_fp_ieee_overflow 0
		.amdhsa_exception_fp_ieee_underflow 0
		.amdhsa_exception_fp_ieee_inexact 0
		.amdhsa_exception_int_div_zero 0
	.end_amdhsa_kernel
	.section	.text._ZN2at6native12_GLOBAL__N_128upsample_nearest3d_out_frameIN3c108BFloat16EXadL_ZNS0_43nearest_neighbor_exact_compute_source_indexEfiiEEEEvPKT_mmmmmmmmPS5_fff,"axG",@progbits,_ZN2at6native12_GLOBAL__N_128upsample_nearest3d_out_frameIN3c108BFloat16EXadL_ZNS0_43nearest_neighbor_exact_compute_source_indexEfiiEEEEvPKT_mmmmmmmmPS5_fff,comdat
.Lfunc_end8:
	.size	_ZN2at6native12_GLOBAL__N_128upsample_nearest3d_out_frameIN3c108BFloat16EXadL_ZNS0_43nearest_neighbor_exact_compute_source_indexEfiiEEEEvPKT_mmmmmmmmPS5_fff, .Lfunc_end8-_ZN2at6native12_GLOBAL__N_128upsample_nearest3d_out_frameIN3c108BFloat16EXadL_ZNS0_43nearest_neighbor_exact_compute_source_indexEfiiEEEEvPKT_mmmmmmmmPS5_fff
                                        ; -- End function
	.set _ZN2at6native12_GLOBAL__N_128upsample_nearest3d_out_frameIN3c108BFloat16EXadL_ZNS0_43nearest_neighbor_exact_compute_source_indexEfiiEEEEvPKT_mmmmmmmmPS5_fff.num_vgpr, 19
	.set _ZN2at6native12_GLOBAL__N_128upsample_nearest3d_out_frameIN3c108BFloat16EXadL_ZNS0_43nearest_neighbor_exact_compute_source_indexEfiiEEEEvPKT_mmmmmmmmPS5_fff.num_agpr, 0
	.set _ZN2at6native12_GLOBAL__N_128upsample_nearest3d_out_frameIN3c108BFloat16EXadL_ZNS0_43nearest_neighbor_exact_compute_source_indexEfiiEEEEvPKT_mmmmmmmmPS5_fff.numbered_sgpr, 39
	.set _ZN2at6native12_GLOBAL__N_128upsample_nearest3d_out_frameIN3c108BFloat16EXadL_ZNS0_43nearest_neighbor_exact_compute_source_indexEfiiEEEEvPKT_mmmmmmmmPS5_fff.num_named_barrier, 0
	.set _ZN2at6native12_GLOBAL__N_128upsample_nearest3d_out_frameIN3c108BFloat16EXadL_ZNS0_43nearest_neighbor_exact_compute_source_indexEfiiEEEEvPKT_mmmmmmmmPS5_fff.private_seg_size, 0
	.set _ZN2at6native12_GLOBAL__N_128upsample_nearest3d_out_frameIN3c108BFloat16EXadL_ZNS0_43nearest_neighbor_exact_compute_source_indexEfiiEEEEvPKT_mmmmmmmmPS5_fff.uses_vcc, 1
	.set _ZN2at6native12_GLOBAL__N_128upsample_nearest3d_out_frameIN3c108BFloat16EXadL_ZNS0_43nearest_neighbor_exact_compute_source_indexEfiiEEEEvPKT_mmmmmmmmPS5_fff.uses_flat_scratch, 0
	.set _ZN2at6native12_GLOBAL__N_128upsample_nearest3d_out_frameIN3c108BFloat16EXadL_ZNS0_43nearest_neighbor_exact_compute_source_indexEfiiEEEEvPKT_mmmmmmmmPS5_fff.has_dyn_sized_stack, 0
	.set _ZN2at6native12_GLOBAL__N_128upsample_nearest3d_out_frameIN3c108BFloat16EXadL_ZNS0_43nearest_neighbor_exact_compute_source_indexEfiiEEEEvPKT_mmmmmmmmPS5_fff.has_recursion, 0
	.set _ZN2at6native12_GLOBAL__N_128upsample_nearest3d_out_frameIN3c108BFloat16EXadL_ZNS0_43nearest_neighbor_exact_compute_source_indexEfiiEEEEvPKT_mmmmmmmmPS5_fff.has_indirect_call, 0
	.section	.AMDGPU.csdata,"",@progbits
; Kernel info:
; codeLenInByte = 5360
; TotalNumSgprs: 43
; NumVgprs: 19
; ScratchSize: 0
; MemoryBound: 0
; FloatMode: 240
; IeeeMode: 1
; LDSByteSize: 0 bytes/workgroup (compile time only)
; SGPRBlocks: 5
; VGPRBlocks: 4
; NumSGPRsForWavesPerEU: 43
; NumVGPRsForWavesPerEU: 19
; Occupancy: 10
; WaveLimiterHint : 0
; COMPUTE_PGM_RSRC2:SCRATCH_EN: 0
; COMPUTE_PGM_RSRC2:USER_SGPR: 6
; COMPUTE_PGM_RSRC2:TRAP_HANDLER: 0
; COMPUTE_PGM_RSRC2:TGID_X_EN: 1
; COMPUTE_PGM_RSRC2:TGID_Y_EN: 0
; COMPUTE_PGM_RSRC2:TGID_Z_EN: 0
; COMPUTE_PGM_RSRC2:TIDIG_COMP_CNT: 0
	.section	.text._ZN2at6native12_GLOBAL__N_128upsample_nearest3d_out_frameIhXadL_ZNS0_43nearest_neighbor_exact_compute_source_indexEfiiEEEEvPKT_mmmmmmmmPS3_fff,"axG",@progbits,_ZN2at6native12_GLOBAL__N_128upsample_nearest3d_out_frameIhXadL_ZNS0_43nearest_neighbor_exact_compute_source_indexEfiiEEEEvPKT_mmmmmmmmPS3_fff,comdat
	.globl	_ZN2at6native12_GLOBAL__N_128upsample_nearest3d_out_frameIhXadL_ZNS0_43nearest_neighbor_exact_compute_source_indexEfiiEEEEvPKT_mmmmmmmmPS3_fff ; -- Begin function _ZN2at6native12_GLOBAL__N_128upsample_nearest3d_out_frameIhXadL_ZNS0_43nearest_neighbor_exact_compute_source_indexEfiiEEEEvPKT_mmmmmmmmPS3_fff
	.p2align	8
	.type	_ZN2at6native12_GLOBAL__N_128upsample_nearest3d_out_frameIhXadL_ZNS0_43nearest_neighbor_exact_compute_source_indexEfiiEEEEvPKT_mmmmmmmmPS3_fff,@function
_ZN2at6native12_GLOBAL__N_128upsample_nearest3d_out_frameIhXadL_ZNS0_43nearest_neighbor_exact_compute_source_indexEfiiEEEEvPKT_mmmmmmmmPS3_fff: ; @_ZN2at6native12_GLOBAL__N_128upsample_nearest3d_out_frameIhXadL_ZNS0_43nearest_neighbor_exact_compute_source_indexEfiiEEEEvPKT_mmmmmmmmPS3_fff
; %bb.0:
	s_load_dword s0, s[4:5], 0x6c
	s_load_dwordx4 s[24:27], s[4:5], 0x40
	s_load_dwordx16 s[8:23], s[4:5], 0x0
	v_mov_b32_e32 v2, 0
	v_mov_b32_e32 v1, v2
	s_waitcnt lgkmcnt(0)
	s_and_b32 s0, s0, 0xffff
	v_mov_b32_e32 v3, s6
	v_mad_u64_u32 v[0:1], s[0:1], s0, v3, v[0:1]
	s_mul_i32 s0, s22, s21
	s_mul_hi_u32 s1, s22, s20
	s_add_i32 s1, s1, s0
	s_mul_i32 s0, s23, s20
	s_add_i32 s1, s1, s0
	s_mul_i32 s0, s22, s20
	s_mul_i32 s2, s0, s13
	s_mul_hi_u32 s3, s0, s12
	s_add_i32 s2, s3, s2
	s_mul_i32 s3, s1, s12
	s_add_i32 s2, s2, s3
	s_mul_i32 s3, s0, s12
	s_mul_i32 s6, s3, s25
	s_mul_hi_u32 s7, s3, s24
	s_mul_i32 s2, s2, s24
	s_add_i32 s6, s7, s6
	s_add_i32 s7, s6, s2
	s_mul_i32 s6, s3, s24
	v_cmp_gt_u64_e32 vcc, s[6:7], v[0:1]
	s_cmp_lg_u64 s[10:11], 0
	s_cselect_b64 s[2:3], -1, 0
	s_and_b64 s[2:3], vcc, s[2:3]
	s_and_saveexec_b64 s[28:29], s[2:3]
	s_cbranch_execz .LBB9_31
; %bb.1:
	s_mul_i32 s2, s0, s25
	s_mul_hi_u32 s3, s0, s24
	s_add_i32 s2, s3, s2
	s_mul_i32 s1, s1, s24
	s_add_i32 s1, s2, s1
	v_or_b32_e32 v3, s1, v1
	v_cmp_ne_u64_e32 vcc, 0, v[2:3]
	s_mul_i32 s33, s0, s24
                                        ; implicit-def: $vgpr4_vgpr5
	s_and_saveexec_b64 s[2:3], vcc
	s_xor_b64 s[2:3], exec, s[2:3]
	s_cbranch_execz .LBB9_3
; %bb.2:
	s_ashr_i32 s28, s1, 31
	s_add_u32 s0, s33, s28
	s_mov_b32 s29, s28
	s_addc_u32 s1, s1, s28
	s_xor_b64 s[30:31], s[0:1], s[28:29]
	v_cvt_f32_u32_e32 v2, s30
	v_cvt_f32_u32_e32 v3, s31
	s_sub_u32 s29, 0, s30
	s_subb_u32 s34, 0, s31
	v_ashrrev_i32_e32 v6, 31, v1
	v_madmk_f32 v2, v3, 0x4f800000, v2
	v_rcp_f32_e32 v2, v2
	v_mul_f32_e32 v2, 0x5f7ffffc, v2
	v_mul_f32_e32 v3, 0x2f800000, v2
	v_trunc_f32_e32 v3, v3
	v_madmk_f32 v2, v3, 0xcf800000, v2
	v_cvt_u32_f32_e32 v3, v3
	v_cvt_u32_f32_e32 v2, v2
	v_readfirstlane_b32 s35, v3
	v_readfirstlane_b32 s0, v2
	s_mul_i32 s1, s29, s35
	s_mul_hi_u32 s37, s29, s0
	s_mul_i32 s36, s34, s0
	s_add_i32 s1, s37, s1
	s_add_i32 s1, s1, s36
	s_mul_i32 s38, s29, s0
	s_mul_i32 s37, s0, s1
	s_mul_hi_u32 s39, s0, s38
	s_mul_hi_u32 s36, s0, s1
	s_add_u32 s37, s39, s37
	s_addc_u32 s36, 0, s36
	s_mul_hi_u32 s40, s35, s38
	s_mul_i32 s38, s35, s38
	s_add_u32 s37, s37, s38
	s_mul_hi_u32 s39, s35, s1
	s_addc_u32 s36, s36, s40
	s_addc_u32 s37, s39, 0
	s_mul_i32 s1, s35, s1
	s_add_u32 s1, s36, s1
	s_addc_u32 s36, 0, s37
	s_add_u32 s37, s0, s1
	s_cselect_b64 s[0:1], -1, 0
	s_cmp_lg_u64 s[0:1], 0
	s_addc_u32 s35, s35, s36
	s_mul_i32 s0, s29, s35
	s_mul_hi_u32 s1, s29, s37
	s_add_i32 s0, s1, s0
	s_mul_i32 s34, s34, s37
	s_add_i32 s0, s0, s34
	s_mul_i32 s29, s29, s37
	s_mul_hi_u32 s34, s35, s29
	s_mul_i32 s36, s35, s29
	s_mul_i32 s39, s37, s0
	s_mul_hi_u32 s29, s37, s29
	s_mul_hi_u32 s38, s37, s0
	s_add_u32 s29, s29, s39
	s_addc_u32 s38, 0, s38
	s_add_u32 s29, s29, s36
	s_mul_hi_u32 s1, s35, s0
	s_addc_u32 s29, s38, s34
	s_addc_u32 s1, s1, 0
	s_mul_i32 s0, s35, s0
	s_add_u32 s0, s29, s0
	s_addc_u32 s29, 0, s1
	s_add_u32 s34, s37, s0
	s_cselect_b64 s[0:1], -1, 0
	s_cmp_lg_u64 s[0:1], 0
	v_add_co_u32_e32 v2, vcc, v0, v6
	s_addc_u32 s29, s35, s29
	v_xor_b32_e32 v7, v2, v6
	v_mad_u64_u32 v[2:3], s[0:1], v7, s29, 0
	v_mul_hi_u32 v5, v7, s34
	v_addc_co_u32_e32 v4, vcc, v1, v6, vcc
	v_xor_b32_e32 v8, v4, v6
	v_add_co_u32_e32 v9, vcc, v5, v2
	v_addc_co_u32_e32 v10, vcc, 0, v3, vcc
	v_mad_u64_u32 v[2:3], s[0:1], v8, s34, 0
	v_mad_u64_u32 v[4:5], s[0:1], v8, s29, 0
	v_add_co_u32_e32 v2, vcc, v9, v2
	v_addc_co_u32_e32 v2, vcc, v10, v3, vcc
	v_addc_co_u32_e32 v3, vcc, 0, v5, vcc
	v_add_co_u32_e32 v4, vcc, v2, v4
	v_addc_co_u32_e32 v5, vcc, 0, v3, vcc
	v_mul_lo_u32 v9, s31, v4
	v_mul_lo_u32 v10, s30, v5
	v_mad_u64_u32 v[2:3], s[0:1], s30, v4, 0
	v_add3_u32 v3, v3, v10, v9
	v_sub_u32_e32 v9, v8, v3
	v_mov_b32_e32 v10, s31
	v_sub_co_u32_e32 v2, vcc, v7, v2
	v_subb_co_u32_e64 v7, s[0:1], v9, v10, vcc
	v_subrev_co_u32_e64 v9, s[0:1], s30, v2
	v_subbrev_co_u32_e64 v7, s[0:1], 0, v7, s[0:1]
	v_cmp_le_u32_e64 s[0:1], s31, v7
	v_cndmask_b32_e64 v10, 0, -1, s[0:1]
	v_cmp_le_u32_e64 s[0:1], s30, v9
	v_cndmask_b32_e64 v9, 0, -1, s[0:1]
	v_cmp_eq_u32_e64 s[0:1], s31, v7
	v_cndmask_b32_e64 v7, v10, v9, s[0:1]
	v_add_co_u32_e64 v9, s[0:1], 2, v4
	v_subb_co_u32_e32 v3, vcc, v8, v3, vcc
	v_addc_co_u32_e64 v10, s[0:1], 0, v5, s[0:1]
	v_cmp_le_u32_e32 vcc, s31, v3
	v_add_co_u32_e64 v11, s[0:1], 1, v4
	v_cndmask_b32_e64 v8, 0, -1, vcc
	v_cmp_le_u32_e32 vcc, s30, v2
	v_addc_co_u32_e64 v12, s[0:1], 0, v5, s[0:1]
	v_cndmask_b32_e64 v2, 0, -1, vcc
	v_cmp_eq_u32_e32 vcc, s31, v3
	v_cmp_ne_u32_e64 s[0:1], 0, v7
	v_cndmask_b32_e32 v2, v8, v2, vcc
	v_cndmask_b32_e64 v7, v12, v10, s[0:1]
	v_cmp_ne_u32_e32 vcc, 0, v2
	v_cndmask_b32_e64 v3, v11, v9, s[0:1]
	v_cndmask_b32_e32 v2, v5, v7, vcc
	v_cndmask_b32_e32 v3, v4, v3, vcc
	v_xor_b32_e32 v5, s28, v6
	v_xor_b32_e32 v3, v3, v5
	;; [unrolled: 1-line block ×3, first 2 shown]
	v_sub_co_u32_e32 v4, vcc, v3, v5
	v_subb_co_u32_e32 v5, vcc, v2, v5, vcc
.LBB9_3:
	s_andn2_saveexec_b64 s[0:1], s[2:3]
	s_cbranch_execz .LBB9_5
; %bb.4:
	v_cvt_f32_u32_e32 v2, s33
	s_sub_i32 s2, 0, s33
	v_rcp_iflag_f32_e32 v2, v2
	v_mul_f32_e32 v2, 0x4f7ffffe, v2
	v_cvt_u32_f32_e32 v2, v2
	v_mul_lo_u32 v3, s2, v2
	v_mul_hi_u32 v3, v2, v3
	v_add_u32_e32 v2, v2, v3
	v_mul_hi_u32 v2, v0, v2
	v_mul_lo_u32 v3, v2, s33
	v_add_u32_e32 v4, 1, v2
	v_sub_u32_e32 v3, v0, v3
	v_subrev_u32_e32 v5, s33, v3
	v_cmp_le_u32_e32 vcc, s33, v3
	v_cndmask_b32_e32 v3, v3, v5, vcc
	v_cndmask_b32_e32 v2, v2, v4, vcc
	v_add_u32_e32 v4, 1, v2
	v_cmp_le_u32_e32 vcc, s33, v3
	v_cndmask_b32_e32 v4, v2, v4, vcc
	v_mov_b32_e32 v5, 0
.LBB9_5:
	s_or_b64 exec, exec, s[0:1]
	v_or_b32_e32 v3, s13, v5
	v_mov_b32_e32 v2, 0
	v_cmp_ne_u64_e32 vcc, 0, v[2:3]
                                        ; implicit-def: $vgpr2_vgpr3
	s_and_saveexec_b64 s[0:1], vcc
	s_xor_b64 s[2:3], exec, s[0:1]
	s_cbranch_execz .LBB9_7
; %bb.6:
	v_cvt_f32_u32_e32 v2, s12
	v_cvt_f32_u32_e32 v3, s13
	s_sub_u32 s28, 0, s12
	s_subb_u32 s29, 0, s13
	v_madmk_f32 v2, v3, 0x4f800000, v2
	v_rcp_f32_e32 v2, v2
	v_mul_f32_e32 v2, 0x5f7ffffc, v2
	v_mul_f32_e32 v3, 0x2f800000, v2
	v_trunc_f32_e32 v3, v3
	v_madmk_f32 v2, v3, 0xcf800000, v2
	v_cvt_u32_f32_e32 v3, v3
	v_cvt_u32_f32_e32 v2, v2
	v_readfirstlane_b32 s30, v3
	v_readfirstlane_b32 s0, v2
	s_mul_i32 s1, s28, s30
	s_mul_hi_u32 s33, s28, s0
	s_mul_i32 s31, s29, s0
	s_add_i32 s1, s33, s1
	s_mul_i32 s34, s28, s0
	s_add_i32 s1, s1, s31
	s_mul_i32 s33, s0, s1
	s_mul_hi_u32 s35, s0, s34
	s_mul_hi_u32 s31, s0, s1
	s_add_u32 s33, s35, s33
	s_addc_u32 s31, 0, s31
	s_mul_hi_u32 s36, s30, s34
	s_mul_i32 s34, s30, s34
	s_add_u32 s33, s33, s34
	s_mul_hi_u32 s35, s30, s1
	s_addc_u32 s31, s31, s36
	s_addc_u32 s33, s35, 0
	s_mul_i32 s1, s30, s1
	s_add_u32 s1, s31, s1
	s_addc_u32 s31, 0, s33
	s_add_u32 s33, s0, s1
	s_cselect_b64 s[0:1], -1, 0
	s_cmp_lg_u64 s[0:1], 0
	s_addc_u32 s30, s30, s31
	s_mul_i32 s0, s28, s30
	s_mul_hi_u32 s1, s28, s33
	s_add_i32 s0, s1, s0
	s_mul_i32 s29, s29, s33
	s_add_i32 s0, s0, s29
	s_mul_i32 s28, s28, s33
	s_mul_hi_u32 s29, s30, s28
	s_mul_i32 s31, s30, s28
	s_mul_i32 s35, s33, s0
	s_mul_hi_u32 s28, s33, s28
	s_mul_hi_u32 s34, s33, s0
	s_add_u32 s28, s28, s35
	s_addc_u32 s34, 0, s34
	s_add_u32 s28, s28, s31
	s_mul_hi_u32 s1, s30, s0
	s_addc_u32 s28, s34, s29
	s_addc_u32 s1, s1, 0
	s_mul_i32 s0, s30, s0
	s_add_u32 s0, s28, s0
	s_addc_u32 s28, 0, s1
	s_add_u32 s29, s33, s0
	s_cselect_b64 s[0:1], -1, 0
	s_cmp_lg_u64 s[0:1], 0
	s_addc_u32 s28, s30, s28
	v_mad_u64_u32 v[2:3], s[0:1], v4, s28, 0
	v_mul_hi_u32 v6, v4, s29
	v_add_co_u32_e32 v8, vcc, v6, v2
	v_addc_co_u32_e32 v9, vcc, 0, v3, vcc
	v_mad_u64_u32 v[2:3], s[0:1], v5, s29, 0
	v_mad_u64_u32 v[6:7], s[0:1], v5, s28, 0
	v_add_co_u32_e32 v2, vcc, v8, v2
	v_addc_co_u32_e32 v2, vcc, v9, v3, vcc
	v_addc_co_u32_e32 v3, vcc, 0, v7, vcc
	v_add_co_u32_e32 v2, vcc, v2, v6
	v_addc_co_u32_e32 v3, vcc, 0, v3, vcc
	v_mul_lo_u32 v6, s13, v2
	v_mul_lo_u32 v7, s12, v3
	v_mad_u64_u32 v[2:3], s[0:1], s12, v2, 0
	v_add3_u32 v3, v3, v7, v6
	v_sub_u32_e32 v6, v5, v3
	v_mov_b32_e32 v7, s13
	v_sub_co_u32_e32 v2, vcc, v4, v2
	v_subb_co_u32_e64 v4, s[0:1], v6, v7, vcc
	v_subrev_co_u32_e64 v6, s[0:1], s12, v2
	v_subbrev_co_u32_e64 v4, s[0:1], 0, v4, s[0:1]
	v_cmp_le_u32_e64 s[0:1], s13, v4
	v_subb_co_u32_e32 v3, vcc, v5, v3, vcc
	v_cndmask_b32_e64 v7, 0, -1, s[0:1]
	v_cmp_le_u32_e64 s[0:1], s12, v6
	v_cmp_le_u32_e32 vcc, s13, v3
	v_cndmask_b32_e64 v8, 0, -1, s[0:1]
	v_cmp_eq_u32_e64 s[0:1], s13, v4
	v_cndmask_b32_e64 v5, 0, -1, vcc
	v_cmp_le_u32_e32 vcc, s12, v2
	v_cndmask_b32_e64 v4, v7, v8, s[0:1]
	v_cndmask_b32_e64 v8, 0, -1, vcc
	v_cmp_eq_u32_e32 vcc, s13, v3
	v_subrev_co_u32_e64 v7, s[0:1], s12, v6
	v_cndmask_b32_e32 v3, v5, v8, vcc
	v_cmp_ne_u32_e32 vcc, 0, v4
	v_cndmask_b32_e32 v4, v6, v7, vcc
	v_cmp_ne_u32_e32 vcc, 0, v3
	v_cndmask_b32_e32 v2, v2, v4, vcc
                                        ; implicit-def: $vgpr4_vgpr5
.LBB9_7:
	s_andn2_saveexec_b64 s[0:1], s[2:3]
	s_cbranch_execz .LBB9_9
; %bb.8:
	v_cvt_f32_u32_e32 v2, s12
	s_sub_i32 s2, 0, s12
	v_rcp_iflag_f32_e32 v2, v2
	v_mul_f32_e32 v2, 0x4f7ffffe, v2
	v_cvt_u32_f32_e32 v2, v2
	v_mul_lo_u32 v3, s2, v2
	v_mul_hi_u32 v3, v2, v3
	v_add_u32_e32 v2, v2, v3
	v_mul_hi_u32 v2, v4, v2
	v_mul_lo_u32 v2, v2, s12
	v_sub_u32_e32 v2, v4, v2
	v_subrev_u32_e32 v3, s12, v2
	v_cmp_le_u32_e32 vcc, s12, v2
	v_cndmask_b32_e32 v2, v2, v3, vcc
	v_subrev_u32_e32 v3, s12, v2
	v_cmp_le_u32_e32 vcc, s12, v2
	v_cndmask_b32_e32 v2, v2, v3, vcc
.LBB9_9:
	s_or_b64 exec, exec, s[0:1]
	v_cvt_f32_u32_e32 v12, s24
	v_cvt_f32_u32_e32 v13, s25
	v_or_b32_e32 v4, s25, v1
	v_mov_b32_e32 v3, 0
	v_cmp_ne_u64_e32 vcc, 0, v[3:4]
                                        ; implicit-def: $vgpr3_vgpr4
	s_and_saveexec_b64 s[0:1], vcc
	s_xor_b64 s[2:3], exec, s[0:1]
	s_cbranch_execz .LBB9_11
; %bb.10:
	v_madmk_f32 v3, v13, 0x4f800000, v12
	v_rcp_f32_e32 v3, v3
	s_sub_u32 s28, 0, s24
	s_subb_u32 s29, 0, s25
	v_mul_f32_e32 v3, 0x5f7ffffc, v3
	v_mul_f32_e32 v4, 0x2f800000, v3
	v_trunc_f32_e32 v4, v4
	v_madmk_f32 v3, v4, 0xcf800000, v3
	v_cvt_u32_f32_e32 v4, v4
	v_cvt_u32_f32_e32 v3, v3
	v_readfirstlane_b32 s30, v4
	v_readfirstlane_b32 s0, v3
	s_mul_i32 s1, s28, s30
	s_mul_hi_u32 s33, s28, s0
	s_mul_i32 s31, s29, s0
	s_add_i32 s1, s33, s1
	s_add_i32 s1, s1, s31
	s_mul_i32 s34, s28, s0
	s_mul_i32 s33, s0, s1
	s_mul_hi_u32 s35, s0, s34
	s_mul_hi_u32 s31, s0, s1
	s_add_u32 s33, s35, s33
	s_addc_u32 s31, 0, s31
	s_mul_hi_u32 s36, s30, s34
	s_mul_i32 s34, s30, s34
	s_add_u32 s33, s33, s34
	s_mul_hi_u32 s35, s30, s1
	s_addc_u32 s31, s31, s36
	s_addc_u32 s33, s35, 0
	s_mul_i32 s1, s30, s1
	s_add_u32 s1, s31, s1
	s_addc_u32 s31, 0, s33
	s_add_u32 s33, s0, s1
	s_cselect_b64 s[0:1], -1, 0
	s_cmp_lg_u64 s[0:1], 0
	s_addc_u32 s30, s30, s31
	s_mul_i32 s0, s28, s30
	s_mul_hi_u32 s1, s28, s33
	s_add_i32 s0, s1, s0
	s_mul_i32 s29, s29, s33
	s_add_i32 s0, s0, s29
	s_mul_i32 s28, s28, s33
	s_mul_hi_u32 s29, s30, s28
	s_mul_i32 s31, s30, s28
	s_mul_i32 s35, s33, s0
	s_mul_hi_u32 s28, s33, s28
	s_mul_hi_u32 s34, s33, s0
	s_add_u32 s28, s28, s35
	s_addc_u32 s34, 0, s34
	s_add_u32 s28, s28, s31
	s_mul_hi_u32 s1, s30, s0
	s_addc_u32 s28, s34, s29
	s_addc_u32 s1, s1, 0
	s_mul_i32 s0, s30, s0
	s_add_u32 s0, s28, s0
	s_addc_u32 s28, 0, s1
	s_add_u32 s29, s33, s0
	s_cselect_b64 s[0:1], -1, 0
	s_cmp_lg_u64 s[0:1], 0
	s_addc_u32 s28, s30, s28
	v_mad_u64_u32 v[3:4], s[0:1], v0, s28, 0
	v_mul_hi_u32 v5, v0, s29
	v_add_co_u32_e32 v7, vcc, v5, v3
	v_addc_co_u32_e32 v8, vcc, 0, v4, vcc
	v_mad_u64_u32 v[3:4], s[0:1], v1, s29, 0
	v_mad_u64_u32 v[5:6], s[0:1], v1, s28, 0
	v_add_co_u32_e32 v3, vcc, v7, v3
	v_addc_co_u32_e32 v3, vcc, v8, v4, vcc
	v_addc_co_u32_e32 v4, vcc, 0, v6, vcc
	v_add_co_u32_e32 v5, vcc, v3, v5
	v_addc_co_u32_e32 v6, vcc, 0, v4, vcc
	v_mul_lo_u32 v7, s25, v5
	v_mul_lo_u32 v8, s24, v6
	v_mad_u64_u32 v[3:4], s[0:1], s24, v5, 0
	v_add3_u32 v4, v4, v8, v7
	v_sub_u32_e32 v7, v1, v4
	v_mov_b32_e32 v8, s25
	v_sub_co_u32_e32 v3, vcc, v0, v3
	v_subb_co_u32_e64 v7, s[0:1], v7, v8, vcc
	v_subrev_co_u32_e64 v8, s[0:1], s24, v3
	v_subbrev_co_u32_e64 v7, s[0:1], 0, v7, s[0:1]
	v_cmp_le_u32_e64 s[0:1], s25, v7
	v_cndmask_b32_e64 v9, 0, -1, s[0:1]
	v_cmp_le_u32_e64 s[0:1], s24, v8
	v_cndmask_b32_e64 v8, 0, -1, s[0:1]
	v_cmp_eq_u32_e64 s[0:1], s25, v7
	v_cndmask_b32_e64 v7, v9, v8, s[0:1]
	v_add_co_u32_e64 v8, s[0:1], 2, v5
	v_addc_co_u32_e64 v9, s[0:1], 0, v6, s[0:1]
	v_add_co_u32_e64 v10, s[0:1], 1, v5
	v_addc_co_u32_e64 v11, s[0:1], 0, v6, s[0:1]
	v_subb_co_u32_e32 v4, vcc, v1, v4, vcc
	v_cmp_ne_u32_e64 s[0:1], 0, v7
	v_cmp_le_u32_e32 vcc, s25, v4
	v_cndmask_b32_e64 v7, v11, v9, s[0:1]
	v_cndmask_b32_e64 v9, 0, -1, vcc
	v_cmp_le_u32_e32 vcc, s24, v3
	v_cndmask_b32_e64 v3, 0, -1, vcc
	v_cmp_eq_u32_e32 vcc, s25, v4
	v_cndmask_b32_e32 v3, v9, v3, vcc
	v_cmp_ne_u32_e32 vcc, 0, v3
	v_cndmask_b32_e64 v3, v10, v8, s[0:1]
	v_cndmask_b32_e32 v4, v6, v7, vcc
	v_cndmask_b32_e32 v3, v5, v3, vcc
.LBB9_11:
	s_or_saveexec_b64 s[0:1], s[2:3]
	v_cvt_f32_u32_e32 v14, s24
	s_xor_b64 exec, exec, s[0:1]
	s_cbranch_execz .LBB9_13
; %bb.12:
	v_rcp_iflag_f32_e32 v3, v14
	s_sub_i32 s2, 0, s24
	v_mul_f32_e32 v3, 0x4f7ffffe, v3
	v_cvt_u32_f32_e32 v3, v3
	v_mul_lo_u32 v4, s2, v3
	v_mul_hi_u32 v4, v3, v4
	v_add_u32_e32 v3, v3, v4
	v_mul_hi_u32 v3, v0, v3
	v_mul_lo_u32 v4, v3, s24
	v_add_u32_e32 v5, 1, v3
	v_sub_u32_e32 v4, v0, v4
	v_subrev_u32_e32 v6, s24, v4
	v_cmp_le_u32_e32 vcc, s24, v4
	v_cndmask_b32_e32 v4, v4, v6, vcc
	v_cndmask_b32_e32 v3, v3, v5, vcc
	v_add_u32_e32 v5, 1, v3
	v_cmp_le_u32_e32 vcc, s24, v4
	v_cndmask_b32_e32 v3, v3, v5, vcc
	v_mov_b32_e32 v4, 0
.LBB9_13:
	s_or_b64 exec, exec, s[0:1]
	v_cvt_f32_u32_e32 v9, s22
	v_cvt_f32_u32_e32 v10, s23
	v_or_b32_e32 v6, s23, v1
	v_mov_b32_e32 v5, 0
	v_cmp_ne_u64_e32 vcc, 0, v[5:6]
                                        ; implicit-def: $vgpr5_vgpr6
	s_and_saveexec_b64 s[0:1], vcc
	s_xor_b64 s[2:3], exec, s[0:1]
	s_cbranch_execz .LBB9_15
; %bb.14:
	v_madmk_f32 v5, v10, 0x4f800000, v9
	v_rcp_f32_e32 v5, v5
	s_sub_u32 s28, 0, s22
	s_subb_u32 s29, 0, s23
	v_mul_f32_e32 v5, 0x5f7ffffc, v5
	v_mul_f32_e32 v6, 0x2f800000, v5
	v_trunc_f32_e32 v6, v6
	v_madmk_f32 v5, v6, 0xcf800000, v5
	v_cvt_u32_f32_e32 v6, v6
	v_cvt_u32_f32_e32 v5, v5
	v_readfirstlane_b32 s30, v6
	v_readfirstlane_b32 s0, v5
	s_mul_i32 s1, s28, s30
	s_mul_hi_u32 s33, s28, s0
	s_mul_i32 s31, s29, s0
	s_add_i32 s1, s33, s1
	s_add_i32 s1, s1, s31
	s_mul_i32 s34, s28, s0
	s_mul_i32 s33, s0, s1
	s_mul_hi_u32 s35, s0, s34
	s_mul_hi_u32 s31, s0, s1
	s_add_u32 s33, s35, s33
	s_addc_u32 s31, 0, s31
	s_mul_hi_u32 s36, s30, s34
	s_mul_i32 s34, s30, s34
	s_add_u32 s33, s33, s34
	s_mul_hi_u32 s35, s30, s1
	s_addc_u32 s31, s31, s36
	s_addc_u32 s33, s35, 0
	s_mul_i32 s1, s30, s1
	s_add_u32 s1, s31, s1
	s_addc_u32 s31, 0, s33
	s_add_u32 s33, s0, s1
	s_cselect_b64 s[0:1], -1, 0
	s_cmp_lg_u64 s[0:1], 0
	s_addc_u32 s30, s30, s31
	s_mul_i32 s0, s28, s30
	s_mul_hi_u32 s1, s28, s33
	s_add_i32 s0, s1, s0
	s_mul_i32 s29, s29, s33
	s_add_i32 s0, s0, s29
	s_mul_i32 s28, s28, s33
	s_mul_hi_u32 s29, s30, s28
	s_mul_i32 s31, s30, s28
	s_mul_i32 s35, s33, s0
	s_mul_hi_u32 s28, s33, s28
	s_mul_hi_u32 s34, s33, s0
	s_add_u32 s28, s28, s35
	s_addc_u32 s34, 0, s34
	s_add_u32 s28, s28, s31
	s_mul_hi_u32 s1, s30, s0
	s_addc_u32 s28, s34, s29
	s_addc_u32 s1, s1, 0
	s_mul_i32 s0, s30, s0
	s_add_u32 s0, s28, s0
	s_addc_u32 s28, 0, s1
	s_add_u32 s29, s33, s0
	s_cselect_b64 s[0:1], -1, 0
	s_cmp_lg_u64 s[0:1], 0
	s_addc_u32 s28, s30, s28
	v_mad_u64_u32 v[5:6], s[0:1], v0, s28, 0
	v_mul_hi_u32 v7, v0, s29
	v_add_co_u32_e32 v11, vcc, v7, v5
	v_addc_co_u32_e32 v15, vcc, 0, v6, vcc
	v_mad_u64_u32 v[5:6], s[0:1], v1, s29, 0
	v_mad_u64_u32 v[7:8], s[0:1], v1, s28, 0
	v_add_co_u32_e32 v5, vcc, v11, v5
	v_addc_co_u32_e32 v5, vcc, v15, v6, vcc
	v_addc_co_u32_e32 v6, vcc, 0, v8, vcc
	v_add_co_u32_e32 v7, vcc, v5, v7
	v_addc_co_u32_e32 v8, vcc, 0, v6, vcc
	v_mul_lo_u32 v11, s23, v7
	v_mul_lo_u32 v15, s22, v8
	v_mad_u64_u32 v[5:6], s[0:1], s22, v7, 0
	v_add3_u32 v6, v6, v15, v11
	v_sub_u32_e32 v11, v1, v6
	v_mov_b32_e32 v15, s23
	v_sub_co_u32_e32 v5, vcc, v0, v5
	v_subb_co_u32_e64 v11, s[0:1], v11, v15, vcc
	v_subrev_co_u32_e64 v15, s[0:1], s22, v5
	v_subbrev_co_u32_e64 v11, s[0:1], 0, v11, s[0:1]
	v_cmp_le_u32_e64 s[0:1], s23, v11
	v_cndmask_b32_e64 v16, 0, -1, s[0:1]
	v_cmp_le_u32_e64 s[0:1], s22, v15
	v_cndmask_b32_e64 v15, 0, -1, s[0:1]
	v_cmp_eq_u32_e64 s[0:1], s23, v11
	v_cndmask_b32_e64 v11, v16, v15, s[0:1]
	v_add_co_u32_e64 v15, s[0:1], 2, v7
	v_addc_co_u32_e64 v16, s[0:1], 0, v8, s[0:1]
	v_add_co_u32_e64 v17, s[0:1], 1, v7
	v_addc_co_u32_e64 v18, s[0:1], 0, v8, s[0:1]
	v_subb_co_u32_e32 v6, vcc, v1, v6, vcc
	v_cmp_ne_u32_e64 s[0:1], 0, v11
	v_cmp_le_u32_e32 vcc, s23, v6
	v_cndmask_b32_e64 v11, v18, v16, s[0:1]
	v_cndmask_b32_e64 v16, 0, -1, vcc
	v_cmp_le_u32_e32 vcc, s22, v5
	v_cndmask_b32_e64 v5, 0, -1, vcc
	v_cmp_eq_u32_e32 vcc, s23, v6
	v_cndmask_b32_e32 v5, v16, v5, vcc
	v_cmp_ne_u32_e32 vcc, 0, v5
	v_cndmask_b32_e64 v5, v17, v15, s[0:1]
	v_cndmask_b32_e32 v6, v8, v11, vcc
	v_cndmask_b32_e32 v5, v7, v5, vcc
.LBB9_15:
	s_or_saveexec_b64 s[0:1], s[2:3]
	v_cvt_f32_u32_e32 v11, s22
	s_xor_b64 exec, exec, s[0:1]
	s_cbranch_execz .LBB9_17
; %bb.16:
	v_rcp_iflag_f32_e32 v5, v11
	s_sub_i32 s2, 0, s22
	v_mul_f32_e32 v5, 0x4f7ffffe, v5
	v_cvt_u32_f32_e32 v5, v5
	v_mul_lo_u32 v6, s2, v5
	v_mul_hi_u32 v6, v5, v6
	v_add_u32_e32 v5, v5, v6
	v_mul_hi_u32 v5, v0, v5
	v_mul_lo_u32 v6, v5, s22
	v_add_u32_e32 v7, 1, v5
	v_sub_u32_e32 v6, v0, v6
	v_subrev_u32_e32 v8, s22, v6
	v_cmp_le_u32_e32 vcc, s22, v6
	v_cndmask_b32_e32 v6, v6, v8, vcc
	v_cndmask_b32_e32 v5, v5, v7, vcc
	v_add_u32_e32 v7, 1, v5
	v_cmp_le_u32_e32 vcc, s22, v6
	v_cndmask_b32_e32 v5, v5, v7, vcc
	v_mov_b32_e32 v6, 0
.LBB9_17:
	s_or_b64 exec, exec, s[0:1]
	v_or_b32_e32 v8, s25, v6
	v_mov_b32_e32 v7, 0
	v_cmp_ne_u64_e32 vcc, 0, v[7:8]
                                        ; implicit-def: $vgpr7_vgpr8
	s_and_saveexec_b64 s[0:1], vcc
	s_xor_b64 s[2:3], exec, s[0:1]
	s_cbranch_execz .LBB9_19
; %bb.18:
	v_madmk_f32 v7, v13, 0x4f800000, v12
	v_rcp_f32_e32 v7, v7
	s_sub_u32 s28, 0, s24
	s_subb_u32 s29, 0, s25
	v_mul_f32_e32 v7, 0x5f7ffffc, v7
	v_mul_f32_e32 v8, 0x2f800000, v7
	v_trunc_f32_e32 v8, v8
	v_madmk_f32 v7, v8, 0xcf800000, v7
	v_cvt_u32_f32_e32 v8, v8
	v_cvt_u32_f32_e32 v7, v7
	v_readfirstlane_b32 s30, v8
	v_readfirstlane_b32 s0, v7
	s_mul_i32 s1, s28, s30
	s_mul_hi_u32 s33, s28, s0
	s_mul_i32 s31, s29, s0
	s_add_i32 s1, s33, s1
	s_add_i32 s1, s1, s31
	s_mul_i32 s34, s28, s0
	s_mul_i32 s33, s0, s1
	s_mul_hi_u32 s35, s0, s34
	s_mul_hi_u32 s31, s0, s1
	s_add_u32 s33, s35, s33
	s_addc_u32 s31, 0, s31
	s_mul_hi_u32 s36, s30, s34
	s_mul_i32 s34, s30, s34
	s_add_u32 s33, s33, s34
	s_mul_hi_u32 s35, s30, s1
	s_addc_u32 s31, s31, s36
	s_addc_u32 s33, s35, 0
	s_mul_i32 s1, s30, s1
	s_add_u32 s1, s31, s1
	s_addc_u32 s31, 0, s33
	s_add_u32 s33, s0, s1
	s_cselect_b64 s[0:1], -1, 0
	s_cmp_lg_u64 s[0:1], 0
	s_addc_u32 s30, s30, s31
	s_mul_i32 s0, s28, s30
	s_mul_hi_u32 s1, s28, s33
	s_add_i32 s0, s1, s0
	s_mul_i32 s29, s29, s33
	s_add_i32 s0, s0, s29
	s_mul_i32 s28, s28, s33
	s_mul_hi_u32 s29, s30, s28
	s_mul_i32 s31, s30, s28
	s_mul_i32 s35, s33, s0
	s_mul_hi_u32 s28, s33, s28
	s_mul_hi_u32 s34, s33, s0
	s_add_u32 s28, s28, s35
	s_addc_u32 s34, 0, s34
	s_add_u32 s28, s28, s31
	s_mul_hi_u32 s1, s30, s0
	s_addc_u32 s28, s34, s29
	s_addc_u32 s1, s1, 0
	s_mul_i32 s0, s30, s0
	s_add_u32 s0, s28, s0
	s_addc_u32 s28, 0, s1
	s_add_u32 s29, s33, s0
	s_cselect_b64 s[0:1], -1, 0
	s_cmp_lg_u64 s[0:1], 0
	s_addc_u32 s28, s30, s28
	v_mad_u64_u32 v[7:8], s[0:1], v5, s28, 0
	v_mul_hi_u32 v12, v5, s29
	v_add_co_u32_e32 v14, vcc, v12, v7
	v_addc_co_u32_e32 v15, vcc, 0, v8, vcc
	v_mad_u64_u32 v[7:8], s[0:1], v6, s29, 0
	v_mad_u64_u32 v[12:13], s[0:1], v6, s28, 0
	v_add_co_u32_e32 v7, vcc, v14, v7
	v_addc_co_u32_e32 v7, vcc, v15, v8, vcc
	v_addc_co_u32_e32 v8, vcc, 0, v13, vcc
	v_add_co_u32_e32 v12, vcc, v7, v12
	v_addc_co_u32_e32 v13, vcc, 0, v8, vcc
	v_mul_lo_u32 v14, s25, v12
	v_mul_lo_u32 v15, s24, v13
	v_mad_u64_u32 v[7:8], s[0:1], s24, v12, 0
	v_add3_u32 v8, v8, v15, v14
	v_sub_u32_e32 v14, v6, v8
	v_mov_b32_e32 v15, s25
	v_sub_co_u32_e32 v5, vcc, v5, v7
	v_subb_co_u32_e64 v7, s[0:1], v14, v15, vcc
	v_subrev_co_u32_e64 v14, s[0:1], s24, v5
	v_subbrev_co_u32_e64 v7, s[0:1], 0, v7, s[0:1]
	v_cmp_le_u32_e64 s[0:1], s25, v7
	v_cndmask_b32_e64 v15, 0, -1, s[0:1]
	v_cmp_le_u32_e64 s[0:1], s24, v14
	v_cndmask_b32_e64 v14, 0, -1, s[0:1]
	v_cmp_eq_u32_e64 s[0:1], s25, v7
	v_cndmask_b32_e64 v7, v15, v14, s[0:1]
	v_add_co_u32_e64 v14, s[0:1], 2, v12
	v_subb_co_u32_e32 v6, vcc, v6, v8, vcc
	v_addc_co_u32_e64 v15, s[0:1], 0, v13, s[0:1]
	v_cmp_le_u32_e32 vcc, s25, v6
	v_add_co_u32_e64 v16, s[0:1], 1, v12
	v_cndmask_b32_e64 v8, 0, -1, vcc
	v_cmp_le_u32_e32 vcc, s24, v5
	v_addc_co_u32_e64 v17, s[0:1], 0, v13, s[0:1]
	v_cndmask_b32_e64 v5, 0, -1, vcc
	v_cmp_eq_u32_e32 vcc, s25, v6
	v_cmp_ne_u32_e64 s[0:1], 0, v7
	v_cndmask_b32_e32 v5, v8, v5, vcc
	v_cndmask_b32_e64 v7, v17, v15, s[0:1]
	v_cmp_ne_u32_e32 vcc, 0, v5
	v_cndmask_b32_e64 v5, v16, v14, s[0:1]
	v_cndmask_b32_e32 v8, v13, v7, vcc
	v_cndmask_b32_e32 v7, v12, v5, vcc
                                        ; implicit-def: $vgpr14
                                        ; implicit-def: $vgpr5_vgpr6
.LBB9_19:
	s_andn2_saveexec_b64 s[0:1], s[2:3]
	s_cbranch_execz .LBB9_21
; %bb.20:
	v_rcp_iflag_f32_e32 v6, v14
	s_sub_i32 s2, 0, s24
	v_mul_f32_e32 v6, 0x4f7ffffe, v6
	v_cvt_u32_f32_e32 v6, v6
	v_mul_lo_u32 v7, s2, v6
	v_mul_hi_u32 v7, v6, v7
	v_add_u32_e32 v6, v6, v7
	v_mul_hi_u32 v6, v5, v6
	v_mul_lo_u32 v7, v6, s24
	v_add_u32_e32 v8, 1, v6
	v_sub_u32_e32 v5, v5, v7
	v_subrev_u32_e32 v7, s24, v5
	v_cmp_le_u32_e32 vcc, s24, v5
	v_cndmask_b32_e32 v5, v5, v7, vcc
	v_cndmask_b32_e32 v6, v6, v8, vcc
	v_add_u32_e32 v7, 1, v6
	v_cmp_le_u32_e32 vcc, s24, v5
	v_cndmask_b32_e32 v7, v6, v7, vcc
	v_mov_b32_e32 v8, 0
.LBB9_21:
	s_or_b64 exec, exec, s[0:1]
	v_or_b32_e32 v6, s21, v8
	v_mov_b32_e32 v5, 0
	v_cmp_ne_u64_e32 vcc, 0, v[5:6]
                                        ; implicit-def: $vgpr5_vgpr6
	s_and_saveexec_b64 s[0:1], vcc
	s_xor_b64 s[2:3], exec, s[0:1]
	s_cbranch_execz .LBB9_23
; %bb.22:
	v_cvt_f32_u32_e32 v5, s20
	v_cvt_f32_u32_e32 v6, s21
	s_sub_u32 s25, 0, s20
	s_subb_u32 s28, 0, s21
	v_madmk_f32 v5, v6, 0x4f800000, v5
	v_rcp_f32_e32 v5, v5
	v_mul_f32_e32 v5, 0x5f7ffffc, v5
	v_mul_f32_e32 v6, 0x2f800000, v5
	v_trunc_f32_e32 v6, v6
	v_madmk_f32 v5, v6, 0xcf800000, v5
	v_cvt_u32_f32_e32 v6, v6
	v_cvt_u32_f32_e32 v5, v5
	v_readfirstlane_b32 s29, v6
	v_readfirstlane_b32 s0, v5
	s_mul_i32 s1, s25, s29
	s_mul_hi_u32 s31, s25, s0
	s_mul_i32 s30, s28, s0
	s_add_i32 s1, s31, s1
	s_mul_i32 s33, s25, s0
	s_add_i32 s1, s1, s30
	s_mul_i32 s31, s0, s1
	s_mul_hi_u32 s34, s0, s33
	s_mul_hi_u32 s30, s0, s1
	s_add_u32 s31, s34, s31
	s_addc_u32 s30, 0, s30
	s_mul_hi_u32 s35, s29, s33
	s_mul_i32 s33, s29, s33
	s_add_u32 s31, s31, s33
	s_mul_hi_u32 s34, s29, s1
	s_addc_u32 s30, s30, s35
	s_addc_u32 s31, s34, 0
	s_mul_i32 s1, s29, s1
	s_add_u32 s1, s30, s1
	s_addc_u32 s30, 0, s31
	s_add_u32 s31, s0, s1
	s_cselect_b64 s[0:1], -1, 0
	s_cmp_lg_u64 s[0:1], 0
	s_addc_u32 s29, s29, s30
	s_mul_i32 s0, s25, s29
	s_mul_hi_u32 s1, s25, s31
	s_add_i32 s0, s1, s0
	s_mul_i32 s28, s28, s31
	s_add_i32 s0, s0, s28
	s_mul_i32 s25, s25, s31
	s_mul_hi_u32 s28, s29, s25
	s_mul_i32 s30, s29, s25
	s_mul_i32 s34, s31, s0
	s_mul_hi_u32 s25, s31, s25
	s_mul_hi_u32 s33, s31, s0
	s_add_u32 s25, s25, s34
	s_addc_u32 s33, 0, s33
	s_add_u32 s25, s25, s30
	s_mul_hi_u32 s1, s29, s0
	s_addc_u32 s25, s33, s28
	s_addc_u32 s1, s1, 0
	s_mul_i32 s0, s29, s0
	s_add_u32 s0, s25, s0
	s_addc_u32 s25, 0, s1
	s_add_u32 s28, s31, s0
	s_cselect_b64 s[0:1], -1, 0
	s_cmp_lg_u64 s[0:1], 0
	s_addc_u32 s25, s29, s25
	v_mad_u64_u32 v[5:6], s[0:1], v7, s25, 0
	v_mul_hi_u32 v12, v7, s28
	v_add_co_u32_e32 v14, vcc, v12, v5
	v_addc_co_u32_e32 v15, vcc, 0, v6, vcc
	v_mad_u64_u32 v[5:6], s[0:1], v8, s28, 0
	v_mad_u64_u32 v[12:13], s[0:1], v8, s25, 0
	v_add_co_u32_e32 v5, vcc, v14, v5
	v_addc_co_u32_e32 v5, vcc, v15, v6, vcc
	v_addc_co_u32_e32 v6, vcc, 0, v13, vcc
	v_add_co_u32_e32 v5, vcc, v5, v12
	v_addc_co_u32_e32 v6, vcc, 0, v6, vcc
	v_mul_lo_u32 v12, s21, v5
	v_mul_lo_u32 v13, s20, v6
	v_mad_u64_u32 v[5:6], s[0:1], s20, v5, 0
	v_add3_u32 v6, v6, v13, v12
	v_sub_u32_e32 v12, v8, v6
	v_mov_b32_e32 v13, s21
	v_sub_co_u32_e32 v5, vcc, v7, v5
	v_subb_co_u32_e64 v7, s[0:1], v12, v13, vcc
	v_subrev_co_u32_e64 v12, s[0:1], s20, v5
	v_subbrev_co_u32_e64 v7, s[0:1], 0, v7, s[0:1]
	v_cmp_le_u32_e64 s[0:1], s21, v7
	v_subb_co_u32_e32 v6, vcc, v8, v6, vcc
	v_cndmask_b32_e64 v13, 0, -1, s[0:1]
	v_cmp_le_u32_e64 s[0:1], s20, v12
	v_cmp_le_u32_e32 vcc, s21, v6
	v_cndmask_b32_e64 v14, 0, -1, s[0:1]
	v_cmp_eq_u32_e64 s[0:1], s21, v7
	v_cndmask_b32_e64 v8, 0, -1, vcc
	v_cmp_le_u32_e32 vcc, s20, v5
	v_cndmask_b32_e64 v7, v13, v14, s[0:1]
	v_cndmask_b32_e64 v14, 0, -1, vcc
	v_cmp_eq_u32_e32 vcc, s21, v6
	v_subrev_co_u32_e64 v13, s[0:1], s20, v12
	v_cndmask_b32_e32 v6, v8, v14, vcc
	v_cmp_ne_u32_e32 vcc, 0, v7
	v_cndmask_b32_e32 v7, v12, v13, vcc
	v_cmp_ne_u32_e32 vcc, 0, v6
	v_cndmask_b32_e32 v5, v5, v7, vcc
                                        ; implicit-def: $vgpr7_vgpr8
.LBB9_23:
	s_andn2_saveexec_b64 s[0:1], s[2:3]
	s_cbranch_execz .LBB9_25
; %bb.24:
	v_cvt_f32_u32_e32 v5, s20
	s_sub_i32 s2, 0, s20
	v_rcp_iflag_f32_e32 v5, v5
	v_mul_f32_e32 v5, 0x4f7ffffe, v5
	v_cvt_u32_f32_e32 v5, v5
	v_mul_lo_u32 v6, s2, v5
	v_mul_hi_u32 v6, v5, v6
	v_add_u32_e32 v5, v5, v6
	v_mul_hi_u32 v5, v7, v5
	v_mul_lo_u32 v5, v5, s20
	v_sub_u32_e32 v5, v7, v5
	v_subrev_u32_e32 v6, s20, v5
	v_cmp_le_u32_e32 vcc, s20, v5
	v_cndmask_b32_e32 v5, v5, v6, vcc
	v_subrev_u32_e32 v6, s20, v5
	v_cmp_le_u32_e32 vcc, s20, v5
	v_cndmask_b32_e32 v5, v5, v6, vcc
.LBB9_25:
	s_or_b64 exec, exec, s[0:1]
	v_or_b32_e32 v7, s23, v4
	v_mov_b32_e32 v6, 0
	v_cmp_ne_u64_e32 vcc, 0, v[6:7]
                                        ; implicit-def: $vgpr6_vgpr7
	s_and_saveexec_b64 s[0:1], vcc
	s_xor_b64 s[2:3], exec, s[0:1]
	s_cbranch_execz .LBB9_27
; %bb.26:
	v_madmk_f32 v6, v10, 0x4f800000, v9
	v_rcp_f32_e32 v6, v6
	s_sub_u32 s20, 0, s22
	s_subb_u32 s21, 0, s23
	v_mul_f32_e32 v6, 0x5f7ffffc, v6
	v_mul_f32_e32 v7, 0x2f800000, v6
	v_trunc_f32_e32 v7, v7
	v_madmk_f32 v6, v7, 0xcf800000, v6
	v_cvt_u32_f32_e32 v7, v7
	v_cvt_u32_f32_e32 v6, v6
	v_readfirstlane_b32 s25, v7
	v_readfirstlane_b32 s0, v6
	s_mul_i32 s1, s20, s25
	s_mul_hi_u32 s29, s20, s0
	s_mul_i32 s28, s21, s0
	s_add_i32 s1, s29, s1
	s_add_i32 s1, s1, s28
	s_mul_i32 s30, s20, s0
	s_mul_i32 s29, s0, s1
	s_mul_hi_u32 s31, s0, s30
	s_mul_hi_u32 s28, s0, s1
	s_add_u32 s29, s31, s29
	s_addc_u32 s28, 0, s28
	s_mul_hi_u32 s33, s25, s30
	s_mul_i32 s30, s25, s30
	s_add_u32 s29, s29, s30
	s_mul_hi_u32 s31, s25, s1
	s_addc_u32 s28, s28, s33
	s_addc_u32 s29, s31, 0
	s_mul_i32 s1, s25, s1
	s_add_u32 s1, s28, s1
	s_addc_u32 s28, 0, s29
	s_add_u32 s29, s0, s1
	s_cselect_b64 s[0:1], -1, 0
	s_cmp_lg_u64 s[0:1], 0
	s_addc_u32 s25, s25, s28
	s_mul_i32 s0, s20, s25
	s_mul_hi_u32 s1, s20, s29
	s_add_i32 s0, s1, s0
	s_mul_i32 s21, s21, s29
	s_add_i32 s0, s0, s21
	s_mul_i32 s20, s20, s29
	s_mul_hi_u32 s21, s25, s20
	s_mul_i32 s28, s25, s20
	s_mul_i32 s31, s29, s0
	s_mul_hi_u32 s20, s29, s20
	s_mul_hi_u32 s30, s29, s0
	s_add_u32 s20, s20, s31
	s_addc_u32 s30, 0, s30
	s_add_u32 s20, s20, s28
	s_mul_hi_u32 s1, s25, s0
	s_addc_u32 s20, s30, s21
	s_addc_u32 s1, s1, 0
	s_mul_i32 s0, s25, s0
	s_add_u32 s0, s20, s0
	s_addc_u32 s20, 0, s1
	s_add_u32 s21, s29, s0
	s_cselect_b64 s[0:1], -1, 0
	s_cmp_lg_u64 s[0:1], 0
	s_addc_u32 s20, s25, s20
	v_mad_u64_u32 v[6:7], s[0:1], v3, s20, 0
	v_mul_hi_u32 v8, v3, s21
	v_add_co_u32_e32 v10, vcc, v8, v6
	v_addc_co_u32_e32 v11, vcc, 0, v7, vcc
	v_mad_u64_u32 v[6:7], s[0:1], v4, s21, 0
	v_mad_u64_u32 v[8:9], s[0:1], v4, s20, 0
	v_add_co_u32_e32 v6, vcc, v10, v6
	v_addc_co_u32_e32 v6, vcc, v11, v7, vcc
	v_addc_co_u32_e32 v7, vcc, 0, v9, vcc
	v_add_co_u32_e32 v6, vcc, v6, v8
	v_addc_co_u32_e32 v7, vcc, 0, v7, vcc
	v_mul_lo_u32 v8, s23, v6
	v_mul_lo_u32 v9, s22, v7
	v_mad_u64_u32 v[6:7], s[0:1], s22, v6, 0
	v_add3_u32 v7, v7, v9, v8
	v_sub_u32_e32 v8, v4, v7
	v_mov_b32_e32 v9, s23
	v_sub_co_u32_e32 v6, vcc, v3, v6
	v_subb_co_u32_e64 v8, s[0:1], v8, v9, vcc
	v_subrev_co_u32_e64 v9, s[0:1], s22, v6
	v_subbrev_co_u32_e64 v8, s[0:1], 0, v8, s[0:1]
	v_cmp_le_u32_e64 s[0:1], s23, v8
	v_subb_co_u32_e32 v4, vcc, v4, v7, vcc
	v_cndmask_b32_e64 v10, 0, -1, s[0:1]
	v_cmp_le_u32_e64 s[0:1], s22, v9
	v_cmp_le_u32_e32 vcc, s23, v4
	v_cndmask_b32_e64 v11, 0, -1, s[0:1]
	v_cmp_eq_u32_e64 s[0:1], s23, v8
	v_cndmask_b32_e64 v7, 0, -1, vcc
	v_cmp_le_u32_e32 vcc, s22, v6
	v_cndmask_b32_e64 v8, v10, v11, s[0:1]
	v_cndmask_b32_e64 v11, 0, -1, vcc
	v_cmp_eq_u32_e32 vcc, s23, v4
	v_subrev_co_u32_e64 v10, s[0:1], s22, v9
	v_cndmask_b32_e32 v4, v7, v11, vcc
	v_cmp_ne_u32_e32 vcc, 0, v8
	v_cndmask_b32_e32 v7, v9, v10, vcc
	v_cmp_ne_u32_e32 vcc, 0, v4
	v_cndmask_b32_e32 v6, v6, v7, vcc
                                        ; implicit-def: $vgpr11
.LBB9_27:
	s_andn2_saveexec_b64 s[0:1], s[2:3]
	s_cbranch_execz .LBB9_29
; %bb.28:
	v_rcp_iflag_f32_e32 v4, v11
	s_sub_i32 s2, 0, s22
	v_mul_f32_e32 v4, 0x4f7ffffe, v4
	v_cvt_u32_f32_e32 v4, v4
	v_mul_lo_u32 v6, s2, v4
	v_mul_hi_u32 v6, v4, v6
	v_add_u32_e32 v4, v4, v6
	v_mul_hi_u32 v4, v3, v4
	v_mul_lo_u32 v4, v4, s22
	v_sub_u32_e32 v4, v3, v4
	v_subrev_u32_e32 v6, s22, v4
	v_cmp_le_u32_e32 vcc, s22, v4
	v_cndmask_b32_e32 v4, v4, v6, vcc
	v_subrev_u32_e32 v6, s22, v4
	v_cmp_le_u32_e32 vcc, s22, v4
	v_cndmask_b32_e32 v6, v4, v6, vcc
.LBB9_29:
	s_or_b64 exec, exec, s[0:1]
	s_load_dwordx4 s[0:3], s[4:5], 0x50
	v_cvt_f32_i32_e32 v4, v5
	v_mul_lo_u32 v3, v3, s24
	v_cvt_f32_i32_e32 v6, v6
	s_waitcnt lgkmcnt(0)
	s_add_i32 s3, s14, -1
	v_add_f32_e32 v4, 0.5, v4
	v_sub_u32_e32 v3, v0, v3
	v_mul_f32_e32 v4, s0, v4
	v_cvt_f32_i32_e32 v3, v3
	v_floor_f32_e32 v4, v4
	v_cvt_i32_f32_e32 v4, v4
	s_mul_i32 s0, s18, s17
	v_add_f32_e32 v3, 0.5, v3
	s_mul_hi_u32 s4, s18, s16
	v_mul_f32_e32 v3, s2, v3
	s_add_i32 s0, s4, s0
	v_min_i32_e32 v7, s3, v4
	s_mul_i32 s3, s19, s16
	v_floor_f32_e32 v3, v3
	s_add_i32 s0, s0, s3
	s_mul_i32 s3, s18, s16
	v_cvt_i32_f32_e32 v3, v3
	s_mul_i32 s4, s3, s15
	s_mul_hi_u32 s5, s3, s14
	v_add_f32_e32 v6, 0.5, v6
	s_add_i32 s4, s5, s4
	s_mul_i32 s0, s0, s14
	v_mul_f32_e32 v6, s1, v6
	s_add_i32 s4, s4, s0
	s_add_i32 s0, s18, -1
	v_floor_f32_e32 v6, v6
	v_min_i32_e32 v3, s0, v3
	v_cvt_i32_f32_e32 v6, v6
	s_mul_i32 s2, s3, s14
	v_ashrrev_i32_e32 v4, 31, v3
	v_ashrrev_i32_e32 v5, 31, v2
	v_mul_lo_u32 v9, v2, s4
	v_mad_u64_u32 v[2:3], s[0:1], v2, s2, v[3:4]
	s_add_i32 s0, s16, -1
	v_min_i32_e32 v4, s0, v6
	v_ashrrev_i32_e32 v8, 31, v7
	v_mul_lo_u32 v10, v5, s2
	v_ashrrev_i32_e32 v5, 31, v4
	v_mul_lo_u32 v6, s16, v8
	v_mad_u64_u32 v[4:5], s[0:1], s16, v7, v[4:5]
	v_mul_lo_u32 v7, s17, v7
	v_add3_u32 v3, v10, v3, v9
	v_mad_u64_u32 v[2:3], s[0:1], v4, s18, v[2:3]
	v_add3_u32 v5, v7, v5, v6
	v_mul_lo_u32 v5, v5, s18
	v_mul_lo_u32 v4, v4, s19
	s_mul_i32 s0, s2, s13
	s_mul_hi_u32 s1, s2, s12
	s_mul_i32 s4, s4, s12
	s_add_i32 s0, s1, s0
	v_add3_u32 v3, v5, v3, v4
	s_add_i32 s0, s0, s4
	v_mov_b32_e32 v4, s27
	v_add_co_u32_e32 v0, vcc, s26, v0
	s_mul_i32 s4, s2, s12
	v_addc_co_u32_e32 v1, vcc, v4, v1, vcc
	s_mov_b64 s[2:3], 0
	v_mov_b32_e32 v4, s9
	v_mov_b32_e32 v5, s0
	;; [unrolled: 1-line block ×3, first 2 shown]
.LBB9_30:                               ; =>This Inner Loop Header: Depth=1
	v_add_co_u32_e32 v7, vcc, s8, v2
	v_addc_co_u32_e32 v8, vcc, v4, v3, vcc
	global_load_ubyte v9, v[7:8], off
	s_add_u32 s2, s2, 1
	s_addc_u32 s3, s3, 0
	v_add_co_u32_e32 v2, vcc, s4, v2
	v_mov_b32_e32 v8, s3
	v_addc_co_u32_e32 v3, vcc, v3, v5, vcc
	v_mov_b32_e32 v7, s2
	v_cmp_gt_u64_e32 vcc, s[10:11], v[7:8]
	s_and_b64 vcc, exec, vcc
	s_waitcnt vmcnt(0)
	global_store_byte v[0:1], v9, off
	v_add_co_u32_e64 v0, s[0:1], s6, v0
	v_addc_co_u32_e64 v1, s[0:1], v1, v6, s[0:1]
	s_cbranch_vccnz .LBB9_30
.LBB9_31:
	s_endpgm
	.section	.rodata,"a",@progbits
	.p2align	6, 0x0
	.amdhsa_kernel _ZN2at6native12_GLOBAL__N_128upsample_nearest3d_out_frameIhXadL_ZNS0_43nearest_neighbor_exact_compute_source_indexEfiiEEEEvPKT_mmmmmmmmPS3_fff
		.amdhsa_group_segment_fixed_size 0
		.amdhsa_private_segment_fixed_size 0
		.amdhsa_kernarg_size 352
		.amdhsa_user_sgpr_count 6
		.amdhsa_user_sgpr_private_segment_buffer 1
		.amdhsa_user_sgpr_dispatch_ptr 0
		.amdhsa_user_sgpr_queue_ptr 0
		.amdhsa_user_sgpr_kernarg_segment_ptr 1
		.amdhsa_user_sgpr_dispatch_id 0
		.amdhsa_user_sgpr_flat_scratch_init 0
		.amdhsa_user_sgpr_private_segment_size 0
		.amdhsa_uses_dynamic_stack 0
		.amdhsa_system_sgpr_private_segment_wavefront_offset 0
		.amdhsa_system_sgpr_workgroup_id_x 1
		.amdhsa_system_sgpr_workgroup_id_y 0
		.amdhsa_system_sgpr_workgroup_id_z 0
		.amdhsa_system_sgpr_workgroup_info 0
		.amdhsa_system_vgpr_workitem_id 0
		.amdhsa_next_free_vgpr 19
		.amdhsa_next_free_sgpr 41
		.amdhsa_reserve_vcc 1
		.amdhsa_reserve_flat_scratch 0
		.amdhsa_float_round_mode_32 0
		.amdhsa_float_round_mode_16_64 0
		.amdhsa_float_denorm_mode_32 3
		.amdhsa_float_denorm_mode_16_64 3
		.amdhsa_dx10_clamp 1
		.amdhsa_ieee_mode 1
		.amdhsa_fp16_overflow 0
		.amdhsa_exception_fp_ieee_invalid_op 0
		.amdhsa_exception_fp_denorm_src 0
		.amdhsa_exception_fp_ieee_div_zero 0
		.amdhsa_exception_fp_ieee_overflow 0
		.amdhsa_exception_fp_ieee_underflow 0
		.amdhsa_exception_fp_ieee_inexact 0
		.amdhsa_exception_int_div_zero 0
	.end_amdhsa_kernel
	.section	.text._ZN2at6native12_GLOBAL__N_128upsample_nearest3d_out_frameIhXadL_ZNS0_43nearest_neighbor_exact_compute_source_indexEfiiEEEEvPKT_mmmmmmmmPS3_fff,"axG",@progbits,_ZN2at6native12_GLOBAL__N_128upsample_nearest3d_out_frameIhXadL_ZNS0_43nearest_neighbor_exact_compute_source_indexEfiiEEEEvPKT_mmmmmmmmPS3_fff,comdat
.Lfunc_end9:
	.size	_ZN2at6native12_GLOBAL__N_128upsample_nearest3d_out_frameIhXadL_ZNS0_43nearest_neighbor_exact_compute_source_indexEfiiEEEEvPKT_mmmmmmmmPS3_fff, .Lfunc_end9-_ZN2at6native12_GLOBAL__N_128upsample_nearest3d_out_frameIhXadL_ZNS0_43nearest_neighbor_exact_compute_source_indexEfiiEEEEvPKT_mmmmmmmmPS3_fff
                                        ; -- End function
	.set _ZN2at6native12_GLOBAL__N_128upsample_nearest3d_out_frameIhXadL_ZNS0_43nearest_neighbor_exact_compute_source_indexEfiiEEEEvPKT_mmmmmmmmPS3_fff.num_vgpr, 19
	.set _ZN2at6native12_GLOBAL__N_128upsample_nearest3d_out_frameIhXadL_ZNS0_43nearest_neighbor_exact_compute_source_indexEfiiEEEEvPKT_mmmmmmmmPS3_fff.num_agpr, 0
	.set _ZN2at6native12_GLOBAL__N_128upsample_nearest3d_out_frameIhXadL_ZNS0_43nearest_neighbor_exact_compute_source_indexEfiiEEEEvPKT_mmmmmmmmPS3_fff.numbered_sgpr, 41
	.set _ZN2at6native12_GLOBAL__N_128upsample_nearest3d_out_frameIhXadL_ZNS0_43nearest_neighbor_exact_compute_source_indexEfiiEEEEvPKT_mmmmmmmmPS3_fff.num_named_barrier, 0
	.set _ZN2at6native12_GLOBAL__N_128upsample_nearest3d_out_frameIhXadL_ZNS0_43nearest_neighbor_exact_compute_source_indexEfiiEEEEvPKT_mmmmmmmmPS3_fff.private_seg_size, 0
	.set _ZN2at6native12_GLOBAL__N_128upsample_nearest3d_out_frameIhXadL_ZNS0_43nearest_neighbor_exact_compute_source_indexEfiiEEEEvPKT_mmmmmmmmPS3_fff.uses_vcc, 1
	.set _ZN2at6native12_GLOBAL__N_128upsample_nearest3d_out_frameIhXadL_ZNS0_43nearest_neighbor_exact_compute_source_indexEfiiEEEEvPKT_mmmmmmmmPS3_fff.uses_flat_scratch, 0
	.set _ZN2at6native12_GLOBAL__N_128upsample_nearest3d_out_frameIhXadL_ZNS0_43nearest_neighbor_exact_compute_source_indexEfiiEEEEvPKT_mmmmmmmmPS3_fff.has_dyn_sized_stack, 0
	.set _ZN2at6native12_GLOBAL__N_128upsample_nearest3d_out_frameIhXadL_ZNS0_43nearest_neighbor_exact_compute_source_indexEfiiEEEEvPKT_mmmmmmmmPS3_fff.has_recursion, 0
	.set _ZN2at6native12_GLOBAL__N_128upsample_nearest3d_out_frameIhXadL_ZNS0_43nearest_neighbor_exact_compute_source_indexEfiiEEEEvPKT_mmmmmmmmPS3_fff.has_indirect_call, 0
	.section	.AMDGPU.csdata,"",@progbits
; Kernel info:
; codeLenInByte = 5268
; TotalNumSgprs: 45
; NumVgprs: 19
; ScratchSize: 0
; MemoryBound: 0
; FloatMode: 240
; IeeeMode: 1
; LDSByteSize: 0 bytes/workgroup (compile time only)
; SGPRBlocks: 5
; VGPRBlocks: 4
; NumSGPRsForWavesPerEU: 45
; NumVGPRsForWavesPerEU: 19
; Occupancy: 10
; WaveLimiterHint : 0
; COMPUTE_PGM_RSRC2:SCRATCH_EN: 0
; COMPUTE_PGM_RSRC2:USER_SGPR: 6
; COMPUTE_PGM_RSRC2:TRAP_HANDLER: 0
; COMPUTE_PGM_RSRC2:TGID_X_EN: 1
; COMPUTE_PGM_RSRC2:TGID_Y_EN: 0
; COMPUTE_PGM_RSRC2:TGID_Z_EN: 0
; COMPUTE_PGM_RSRC2:TIDIG_COMP_CNT: 0
	.section	.text._ZN2at6native12_GLOBAL__N_137upsample_nearest3d_backward_out_frameIddXadL_ZNS0_40nearest_neighbor_bw_compute_source_indexEfiiEEEEvPKT_mmmmmmmmPS3_fff,"axG",@progbits,_ZN2at6native12_GLOBAL__N_137upsample_nearest3d_backward_out_frameIddXadL_ZNS0_40nearest_neighbor_bw_compute_source_indexEfiiEEEEvPKT_mmmmmmmmPS3_fff,comdat
	.globl	_ZN2at6native12_GLOBAL__N_137upsample_nearest3d_backward_out_frameIddXadL_ZNS0_40nearest_neighbor_bw_compute_source_indexEfiiEEEEvPKT_mmmmmmmmPS3_fff ; -- Begin function _ZN2at6native12_GLOBAL__N_137upsample_nearest3d_backward_out_frameIddXadL_ZNS0_40nearest_neighbor_bw_compute_source_indexEfiiEEEEvPKT_mmmmmmmmPS3_fff
	.p2align	8
	.type	_ZN2at6native12_GLOBAL__N_137upsample_nearest3d_backward_out_frameIddXadL_ZNS0_40nearest_neighbor_bw_compute_source_indexEfiiEEEEvPKT_mmmmmmmmPS3_fff,@function
_ZN2at6native12_GLOBAL__N_137upsample_nearest3d_backward_out_frameIddXadL_ZNS0_40nearest_neighbor_bw_compute_source_indexEfiiEEEEvPKT_mmmmmmmmPS3_fff: ; @_ZN2at6native12_GLOBAL__N_137upsample_nearest3d_backward_out_frameIddXadL_ZNS0_40nearest_neighbor_bw_compute_source_indexEfiiEEEEvPKT_mmmmmmmmPS3_fff
; %bb.0:
	s_load_dword s0, s[4:5], 0x6c
	s_load_dwordx4 s[24:27], s[4:5], 0x40
	s_load_dwordx16 s[8:23], s[4:5], 0x0
	v_mov_b32_e32 v2, 0
	v_mov_b32_e32 v1, v2
	s_waitcnt lgkmcnt(0)
	s_and_b32 s0, s0, 0xffff
	v_mov_b32_e32 v3, s6
	v_mad_u64_u32 v[0:1], s[0:1], s0, v3, v[0:1]
	s_mul_i32 s0, s22, s21
	s_mul_hi_u32 s1, s22, s20
	s_add_i32 s7, s1, s0
	s_mul_i32 s0, s23, s20
	s_mul_i32 s6, s22, s20
	s_add_i32 s7, s7, s0
	s_mul_i32 s0, s6, s13
	s_mul_hi_u32 s1, s6, s12
	s_add_i32 s0, s1, s0
	s_mul_i32 s1, s7, s12
	s_mul_i32 s2, s6, s12
	s_add_i32 s0, s0, s1
	s_mul_i32 s1, s2, s25
	s_mul_hi_u32 s3, s2, s24
	s_mul_i32 s0, s0, s24
	s_add_i32 s1, s3, s1
	s_add_i32 s1, s1, s0
	s_mul_i32 s0, s2, s24
	v_cmp_gt_u64_e32 vcc, s[0:1], v[0:1]
	s_and_saveexec_b64 s[0:1], vcc
	s_cbranch_execz .LBB10_44
; %bb.1:
	v_or_b32_e32 v3, s23, v1
	v_cmp_ne_u64_e32 vcc, 0, v[2:3]
                                        ; implicit-def: $vgpr2_vgpr3
	s_and_saveexec_b64 s[0:1], vcc
	s_xor_b64 s[2:3], exec, s[0:1]
	s_cbranch_execz .LBB10_3
; %bb.2:
	v_cvt_f32_u32_e32 v2, s22
	v_cvt_f32_u32_e32 v3, s23
	s_sub_u32 s28, 0, s22
	s_subb_u32 s29, 0, s23
	v_madmk_f32 v2, v3, 0x4f800000, v2
	v_rcp_f32_e32 v2, v2
	v_mul_f32_e32 v2, 0x5f7ffffc, v2
	v_mul_f32_e32 v3, 0x2f800000, v2
	v_trunc_f32_e32 v3, v3
	v_madmk_f32 v2, v3, 0xcf800000, v2
	v_cvt_u32_f32_e32 v3, v3
	v_cvt_u32_f32_e32 v2, v2
	v_readfirstlane_b32 s30, v3
	v_readfirstlane_b32 s0, v2
	s_mul_i32 s1, s28, s30
	s_mul_hi_u32 s33, s28, s0
	s_mul_i32 s31, s29, s0
	s_add_i32 s1, s33, s1
	s_mul_i32 s34, s28, s0
	s_add_i32 s1, s1, s31
	s_mul_i32 s33, s0, s1
	s_mul_hi_u32 s35, s0, s34
	s_mul_hi_u32 s31, s0, s1
	s_add_u32 s33, s35, s33
	s_addc_u32 s31, 0, s31
	s_mul_hi_u32 s36, s30, s34
	s_mul_i32 s34, s30, s34
	s_add_u32 s33, s33, s34
	s_mul_hi_u32 s35, s30, s1
	s_addc_u32 s31, s31, s36
	s_addc_u32 s33, s35, 0
	s_mul_i32 s1, s30, s1
	s_add_u32 s1, s31, s1
	s_addc_u32 s31, 0, s33
	s_add_u32 s33, s0, s1
	s_cselect_b64 s[0:1], -1, 0
	s_cmp_lg_u64 s[0:1], 0
	s_addc_u32 s30, s30, s31
	s_mul_i32 s0, s28, s30
	s_mul_hi_u32 s1, s28, s33
	s_add_i32 s0, s1, s0
	s_mul_i32 s29, s29, s33
	s_add_i32 s0, s0, s29
	s_mul_i32 s28, s28, s33
	s_mul_hi_u32 s29, s30, s28
	s_mul_i32 s31, s30, s28
	s_mul_i32 s35, s33, s0
	s_mul_hi_u32 s28, s33, s28
	s_mul_hi_u32 s34, s33, s0
	s_add_u32 s28, s28, s35
	s_addc_u32 s34, 0, s34
	s_add_u32 s28, s28, s31
	s_mul_hi_u32 s1, s30, s0
	s_addc_u32 s28, s34, s29
	s_addc_u32 s1, s1, 0
	s_mul_i32 s0, s30, s0
	s_add_u32 s0, s28, s0
	s_addc_u32 s28, 0, s1
	s_add_u32 s29, s33, s0
	s_cselect_b64 s[0:1], -1, 0
	s_cmp_lg_u64 s[0:1], 0
	s_addc_u32 s28, s30, s28
	v_mad_u64_u32 v[2:3], s[0:1], v0, s28, 0
	v_mul_hi_u32 v4, v0, s29
	v_add_co_u32_e32 v6, vcc, v4, v2
	v_addc_co_u32_e32 v7, vcc, 0, v3, vcc
	v_mad_u64_u32 v[2:3], s[0:1], v1, s29, 0
	v_mad_u64_u32 v[4:5], s[0:1], v1, s28, 0
	v_add_co_u32_e32 v2, vcc, v6, v2
	v_addc_co_u32_e32 v2, vcc, v7, v3, vcc
	v_addc_co_u32_e32 v3, vcc, 0, v5, vcc
	v_add_co_u32_e32 v4, vcc, v2, v4
	v_addc_co_u32_e32 v5, vcc, 0, v3, vcc
	v_mul_lo_u32 v6, s23, v4
	v_mul_lo_u32 v7, s22, v5
	v_mad_u64_u32 v[2:3], s[0:1], s22, v4, 0
	v_add3_u32 v3, v3, v7, v6
	v_sub_u32_e32 v6, v1, v3
	v_mov_b32_e32 v7, s23
	v_sub_co_u32_e32 v2, vcc, v0, v2
	v_subb_co_u32_e64 v6, s[0:1], v6, v7, vcc
	v_subrev_co_u32_e64 v7, s[0:1], s22, v2
	v_subbrev_co_u32_e64 v6, s[0:1], 0, v6, s[0:1]
	v_cmp_le_u32_e64 s[0:1], s23, v6
	v_cndmask_b32_e64 v8, 0, -1, s[0:1]
	v_cmp_le_u32_e64 s[0:1], s22, v7
	v_cndmask_b32_e64 v7, 0, -1, s[0:1]
	v_cmp_eq_u32_e64 s[0:1], s23, v6
	v_cndmask_b32_e64 v6, v8, v7, s[0:1]
	v_add_co_u32_e64 v7, s[0:1], 2, v4
	v_addc_co_u32_e64 v8, s[0:1], 0, v5, s[0:1]
	v_add_co_u32_e64 v9, s[0:1], 1, v4
	v_addc_co_u32_e64 v10, s[0:1], 0, v5, s[0:1]
	v_subb_co_u32_e32 v3, vcc, v1, v3, vcc
	v_cmp_ne_u32_e64 s[0:1], 0, v6
	v_cmp_le_u32_e32 vcc, s23, v3
	v_cndmask_b32_e64 v6, v10, v8, s[0:1]
	v_cndmask_b32_e64 v8, 0, -1, vcc
	v_cmp_le_u32_e32 vcc, s22, v2
	v_cndmask_b32_e64 v2, 0, -1, vcc
	v_cmp_eq_u32_e32 vcc, s23, v3
	v_cndmask_b32_e32 v2, v8, v2, vcc
	v_cmp_ne_u32_e32 vcc, 0, v2
	v_cndmask_b32_e64 v2, v9, v7, s[0:1]
	v_cndmask_b32_e32 v3, v5, v6, vcc
	v_cndmask_b32_e32 v2, v4, v2, vcc
.LBB10_3:
	s_andn2_saveexec_b64 s[0:1], s[2:3]
	s_cbranch_execz .LBB10_5
; %bb.4:
	v_cvt_f32_u32_e32 v2, s22
	s_sub_i32 s2, 0, s22
	v_rcp_iflag_f32_e32 v2, v2
	v_mul_f32_e32 v2, 0x4f7ffffe, v2
	v_cvt_u32_f32_e32 v2, v2
	v_mul_lo_u32 v3, s2, v2
	v_mul_hi_u32 v3, v2, v3
	v_add_u32_e32 v2, v2, v3
	v_mul_hi_u32 v2, v0, v2
	v_mul_lo_u32 v3, v2, s22
	v_add_u32_e32 v4, 1, v2
	v_sub_u32_e32 v3, v0, v3
	v_subrev_u32_e32 v5, s22, v3
	v_cmp_le_u32_e32 vcc, s22, v3
	v_cndmask_b32_e32 v3, v3, v5, vcc
	v_cndmask_b32_e32 v2, v2, v4, vcc
	v_add_u32_e32 v4, 1, v2
	v_cmp_le_u32_e32 vcc, s22, v3
	v_cndmask_b32_e32 v2, v2, v4, vcc
	v_mov_b32_e32 v3, 0
.LBB10_5:
	s_or_b64 exec, exec, s[0:1]
	v_or_b32_e32 v5, s25, v3
	v_mov_b32_e32 v4, 0
	v_cmp_ne_u64_e32 vcc, 0, v[4:5]
                                        ; implicit-def: $vgpr4_vgpr5
	s_and_saveexec_b64 s[0:1], vcc
	s_xor_b64 s[2:3], exec, s[0:1]
	s_cbranch_execz .LBB10_7
; %bb.6:
	v_cvt_f32_u32_e32 v4, s24
	v_cvt_f32_u32_e32 v5, s25
	s_sub_u32 s28, 0, s24
	s_subb_u32 s29, 0, s25
	v_madmk_f32 v4, v5, 0x4f800000, v4
	v_rcp_f32_e32 v4, v4
	v_mul_f32_e32 v4, 0x5f7ffffc, v4
	v_mul_f32_e32 v5, 0x2f800000, v4
	v_trunc_f32_e32 v5, v5
	v_madmk_f32 v4, v5, 0xcf800000, v4
	v_cvt_u32_f32_e32 v5, v5
	v_cvt_u32_f32_e32 v4, v4
	v_readfirstlane_b32 s30, v5
	v_readfirstlane_b32 s0, v4
	s_mul_i32 s1, s28, s30
	s_mul_hi_u32 s33, s28, s0
	s_mul_i32 s31, s29, s0
	s_add_i32 s1, s33, s1
	s_mul_i32 s34, s28, s0
	s_add_i32 s1, s1, s31
	s_mul_i32 s33, s0, s1
	s_mul_hi_u32 s35, s0, s34
	s_mul_hi_u32 s31, s0, s1
	s_add_u32 s33, s35, s33
	s_addc_u32 s31, 0, s31
	s_mul_hi_u32 s36, s30, s34
	s_mul_i32 s34, s30, s34
	s_add_u32 s33, s33, s34
	s_mul_hi_u32 s35, s30, s1
	s_addc_u32 s31, s31, s36
	s_addc_u32 s33, s35, 0
	s_mul_i32 s1, s30, s1
	s_add_u32 s1, s31, s1
	s_addc_u32 s31, 0, s33
	s_add_u32 s33, s0, s1
	s_cselect_b64 s[0:1], -1, 0
	s_cmp_lg_u64 s[0:1], 0
	s_addc_u32 s30, s30, s31
	s_mul_i32 s0, s28, s30
	s_mul_hi_u32 s1, s28, s33
	s_add_i32 s0, s1, s0
	s_mul_i32 s29, s29, s33
	s_add_i32 s0, s0, s29
	s_mul_i32 s28, s28, s33
	s_mul_hi_u32 s29, s30, s28
	s_mul_i32 s31, s30, s28
	s_mul_i32 s35, s33, s0
	s_mul_hi_u32 s28, s33, s28
	s_mul_hi_u32 s34, s33, s0
	s_add_u32 s28, s28, s35
	s_addc_u32 s34, 0, s34
	s_add_u32 s28, s28, s31
	s_mul_hi_u32 s1, s30, s0
	s_addc_u32 s28, s34, s29
	s_addc_u32 s1, s1, 0
	s_mul_i32 s0, s30, s0
	s_add_u32 s0, s28, s0
	s_addc_u32 s28, 0, s1
	s_add_u32 s29, s33, s0
	s_cselect_b64 s[0:1], -1, 0
	s_cmp_lg_u64 s[0:1], 0
	s_addc_u32 s28, s30, s28
	v_mad_u64_u32 v[4:5], s[0:1], v2, s28, 0
	v_mul_hi_u32 v6, v2, s29
	v_add_co_u32_e32 v8, vcc, v6, v4
	v_addc_co_u32_e32 v9, vcc, 0, v5, vcc
	v_mad_u64_u32 v[4:5], s[0:1], v3, s29, 0
	v_mad_u64_u32 v[6:7], s[0:1], v3, s28, 0
	v_add_co_u32_e32 v4, vcc, v8, v4
	v_addc_co_u32_e32 v4, vcc, v9, v5, vcc
	v_addc_co_u32_e32 v5, vcc, 0, v7, vcc
	v_add_co_u32_e32 v6, vcc, v4, v6
	v_addc_co_u32_e32 v7, vcc, 0, v5, vcc
	v_mul_lo_u32 v8, s25, v6
	v_mul_lo_u32 v9, s24, v7
	v_mad_u64_u32 v[4:5], s[0:1], s24, v6, 0
	v_add3_u32 v5, v5, v9, v8
	v_sub_u32_e32 v8, v3, v5
	v_mov_b32_e32 v9, s25
	v_sub_co_u32_e32 v2, vcc, v2, v4
	v_subb_co_u32_e64 v4, s[0:1], v8, v9, vcc
	v_subrev_co_u32_e64 v8, s[0:1], s24, v2
	v_subbrev_co_u32_e64 v4, s[0:1], 0, v4, s[0:1]
	v_cmp_le_u32_e64 s[0:1], s25, v4
	v_cndmask_b32_e64 v9, 0, -1, s[0:1]
	v_cmp_le_u32_e64 s[0:1], s24, v8
	v_cndmask_b32_e64 v8, 0, -1, s[0:1]
	v_cmp_eq_u32_e64 s[0:1], s25, v4
	v_cndmask_b32_e64 v4, v9, v8, s[0:1]
	v_add_co_u32_e64 v8, s[0:1], 2, v6
	v_subb_co_u32_e32 v3, vcc, v3, v5, vcc
	v_addc_co_u32_e64 v9, s[0:1], 0, v7, s[0:1]
	v_cmp_le_u32_e32 vcc, s25, v3
	v_add_co_u32_e64 v10, s[0:1], 1, v6
	v_cndmask_b32_e64 v5, 0, -1, vcc
	v_cmp_le_u32_e32 vcc, s24, v2
	v_addc_co_u32_e64 v11, s[0:1], 0, v7, s[0:1]
	v_cndmask_b32_e64 v2, 0, -1, vcc
	v_cmp_eq_u32_e32 vcc, s25, v3
	v_cmp_ne_u32_e64 s[0:1], 0, v4
	v_cndmask_b32_e32 v2, v5, v2, vcc
	v_cndmask_b32_e64 v4, v11, v9, s[0:1]
	v_cmp_ne_u32_e32 vcc, 0, v2
	v_cndmask_b32_e64 v2, v10, v8, s[0:1]
	v_cndmask_b32_e32 v5, v7, v4, vcc
	v_cndmask_b32_e32 v4, v6, v2, vcc
                                        ; implicit-def: $vgpr2_vgpr3
.LBB10_7:
	s_andn2_saveexec_b64 s[0:1], s[2:3]
	s_cbranch_execz .LBB10_9
; %bb.8:
	v_cvt_f32_u32_e32 v3, s24
	s_sub_i32 s2, 0, s24
	v_rcp_iflag_f32_e32 v3, v3
	v_mul_f32_e32 v3, 0x4f7ffffe, v3
	v_cvt_u32_f32_e32 v3, v3
	v_mul_lo_u32 v4, s2, v3
	v_mul_hi_u32 v4, v3, v4
	v_add_u32_e32 v3, v3, v4
	v_mul_hi_u32 v3, v2, v3
	v_mul_lo_u32 v4, v3, s24
	v_add_u32_e32 v5, 1, v3
	v_sub_u32_e32 v2, v2, v4
	v_subrev_u32_e32 v4, s24, v2
	v_cmp_le_u32_e32 vcc, s24, v2
	v_cndmask_b32_e32 v2, v2, v4, vcc
	v_cndmask_b32_e32 v3, v3, v5, vcc
	v_add_u32_e32 v4, 1, v3
	v_cmp_le_u32_e32 vcc, s24, v2
	v_cndmask_b32_e32 v4, v3, v4, vcc
	v_mov_b32_e32 v5, 0
.LBB10_9:
	s_or_b64 exec, exec, s[0:1]
	v_or_b32_e32 v3, s21, v5
	v_mov_b32_e32 v2, 0
	v_cmp_ne_u64_e32 vcc, 0, v[2:3]
                                        ; implicit-def: $vgpr2_vgpr3
	s_and_saveexec_b64 s[0:1], vcc
	s_xor_b64 s[2:3], exec, s[0:1]
	s_cbranch_execz .LBB10_11
; %bb.10:
	v_cvt_f32_u32_e32 v2, s20
	v_cvt_f32_u32_e32 v3, s21
	s_sub_u32 s28, 0, s20
	s_subb_u32 s29, 0, s21
	v_madmk_f32 v2, v3, 0x4f800000, v2
	v_rcp_f32_e32 v2, v2
	v_mul_f32_e32 v2, 0x5f7ffffc, v2
	v_mul_f32_e32 v3, 0x2f800000, v2
	v_trunc_f32_e32 v3, v3
	v_madmk_f32 v2, v3, 0xcf800000, v2
	v_cvt_u32_f32_e32 v3, v3
	v_cvt_u32_f32_e32 v2, v2
	v_readfirstlane_b32 s30, v3
	v_readfirstlane_b32 s0, v2
	s_mul_i32 s1, s28, s30
	s_mul_hi_u32 s33, s28, s0
	s_mul_i32 s31, s29, s0
	s_add_i32 s1, s33, s1
	s_mul_i32 s34, s28, s0
	s_add_i32 s1, s1, s31
	s_mul_i32 s33, s0, s1
	s_mul_hi_u32 s35, s0, s34
	s_mul_hi_u32 s31, s0, s1
	s_add_u32 s33, s35, s33
	s_addc_u32 s31, 0, s31
	s_mul_hi_u32 s36, s30, s34
	s_mul_i32 s34, s30, s34
	s_add_u32 s33, s33, s34
	s_mul_hi_u32 s35, s30, s1
	s_addc_u32 s31, s31, s36
	s_addc_u32 s33, s35, 0
	s_mul_i32 s1, s30, s1
	s_add_u32 s1, s31, s1
	s_addc_u32 s31, 0, s33
	s_add_u32 s33, s0, s1
	s_cselect_b64 s[0:1], -1, 0
	s_cmp_lg_u64 s[0:1], 0
	s_addc_u32 s30, s30, s31
	s_mul_i32 s0, s28, s30
	s_mul_hi_u32 s1, s28, s33
	s_add_i32 s0, s1, s0
	s_mul_i32 s29, s29, s33
	s_add_i32 s0, s0, s29
	s_mul_i32 s28, s28, s33
	s_mul_hi_u32 s29, s30, s28
	s_mul_i32 s31, s30, s28
	s_mul_i32 s35, s33, s0
	s_mul_hi_u32 s28, s33, s28
	s_mul_hi_u32 s34, s33, s0
	s_add_u32 s28, s28, s35
	s_addc_u32 s34, 0, s34
	s_add_u32 s28, s28, s31
	s_mul_hi_u32 s1, s30, s0
	s_addc_u32 s28, s34, s29
	s_addc_u32 s1, s1, 0
	s_mul_i32 s0, s30, s0
	s_add_u32 s0, s28, s0
	s_addc_u32 s28, 0, s1
	s_add_u32 s29, s33, s0
	s_cselect_b64 s[0:1], -1, 0
	s_cmp_lg_u64 s[0:1], 0
	s_addc_u32 s28, s30, s28
	v_mad_u64_u32 v[2:3], s[0:1], v4, s28, 0
	v_mul_hi_u32 v6, v4, s29
	v_add_co_u32_e32 v8, vcc, v6, v2
	v_addc_co_u32_e32 v9, vcc, 0, v3, vcc
	v_mad_u64_u32 v[2:3], s[0:1], v5, s29, 0
	v_mad_u64_u32 v[6:7], s[0:1], v5, s28, 0
	v_add_co_u32_e32 v2, vcc, v8, v2
	v_addc_co_u32_e32 v2, vcc, v9, v3, vcc
	v_addc_co_u32_e32 v3, vcc, 0, v7, vcc
	v_add_co_u32_e32 v2, vcc, v2, v6
	v_addc_co_u32_e32 v3, vcc, 0, v3, vcc
	v_mul_lo_u32 v6, s21, v2
	v_mul_lo_u32 v7, s20, v3
	v_mad_u64_u32 v[2:3], s[0:1], s20, v2, 0
	v_add3_u32 v3, v3, v7, v6
	v_sub_u32_e32 v6, v5, v3
	v_mov_b32_e32 v7, s21
	v_sub_co_u32_e32 v2, vcc, v4, v2
	v_subb_co_u32_e64 v4, s[0:1], v6, v7, vcc
	v_subrev_co_u32_e64 v6, s[0:1], s20, v2
	v_subbrev_co_u32_e64 v4, s[0:1], 0, v4, s[0:1]
	v_cmp_le_u32_e64 s[0:1], s21, v4
	v_subb_co_u32_e32 v3, vcc, v5, v3, vcc
	v_cndmask_b32_e64 v7, 0, -1, s[0:1]
	v_cmp_le_u32_e64 s[0:1], s20, v6
	v_cmp_le_u32_e32 vcc, s21, v3
	v_cndmask_b32_e64 v8, 0, -1, s[0:1]
	v_cmp_eq_u32_e64 s[0:1], s21, v4
	v_cndmask_b32_e64 v5, 0, -1, vcc
	v_cmp_le_u32_e32 vcc, s20, v2
	v_cndmask_b32_e64 v4, v7, v8, s[0:1]
	v_cndmask_b32_e64 v8, 0, -1, vcc
	v_cmp_eq_u32_e32 vcc, s21, v3
	v_subrev_co_u32_e64 v7, s[0:1], s20, v6
	v_cndmask_b32_e32 v3, v5, v8, vcc
	v_cmp_ne_u32_e32 vcc, 0, v4
	v_cndmask_b32_e32 v4, v6, v7, vcc
	v_cmp_ne_u32_e32 vcc, 0, v3
	v_cndmask_b32_e32 v2, v2, v4, vcc
                                        ; implicit-def: $vgpr4_vgpr5
.LBB10_11:
	s_andn2_saveexec_b64 s[0:1], s[2:3]
	s_cbranch_execz .LBB10_13
; %bb.12:
	v_cvt_f32_u32_e32 v2, s20
	s_sub_i32 s2, 0, s20
	v_rcp_iflag_f32_e32 v2, v2
	v_mul_f32_e32 v2, 0x4f7ffffe, v2
	v_cvt_u32_f32_e32 v2, v2
	v_mul_lo_u32 v3, s2, v2
	v_mul_hi_u32 v3, v2, v3
	v_add_u32_e32 v2, v2, v3
	v_mul_hi_u32 v2, v4, v2
	v_mul_lo_u32 v2, v2, s20
	v_sub_u32_e32 v2, v4, v2
	v_subrev_u32_e32 v3, s20, v2
	v_cmp_le_u32_e32 vcc, s20, v2
	v_cndmask_b32_e32 v2, v2, v3, vcc
	v_subrev_u32_e32 v3, s20, v2
	v_cmp_le_u32_e32 vcc, s20, v2
	v_cndmask_b32_e32 v2, v2, v3, vcc
.LBB10_13:
	s_or_b64 exec, exec, s[0:1]
	v_or_b32_e32 v4, s25, v1
	v_mov_b32_e32 v3, 0
	v_cmp_ne_u64_e32 vcc, 0, v[3:4]
                                        ; implicit-def: $vgpr3_vgpr4
	s_and_saveexec_b64 s[0:1], vcc
	s_xor_b64 s[2:3], exec, s[0:1]
	s_cbranch_execz .LBB10_15
; %bb.14:
	v_cvt_f32_u32_e32 v3, s24
	v_cvt_f32_u32_e32 v4, s25
	s_sub_u32 s20, 0, s24
	s_subb_u32 s21, 0, s25
	v_madmk_f32 v3, v4, 0x4f800000, v3
	v_rcp_f32_e32 v3, v3
	v_mul_f32_e32 v3, 0x5f7ffffc, v3
	v_mul_f32_e32 v4, 0x2f800000, v3
	v_trunc_f32_e32 v4, v4
	v_madmk_f32 v3, v4, 0xcf800000, v3
	v_cvt_u32_f32_e32 v4, v4
	v_cvt_u32_f32_e32 v3, v3
	v_readfirstlane_b32 s28, v4
	v_readfirstlane_b32 s0, v3
	s_mul_i32 s1, s20, s28
	s_mul_hi_u32 s30, s20, s0
	s_mul_i32 s29, s21, s0
	s_add_i32 s1, s30, s1
	s_mul_i32 s31, s20, s0
	s_add_i32 s1, s1, s29
	s_mul_i32 s30, s0, s1
	s_mul_hi_u32 s33, s0, s31
	s_mul_hi_u32 s29, s0, s1
	s_add_u32 s30, s33, s30
	s_addc_u32 s29, 0, s29
	s_mul_hi_u32 s34, s28, s31
	s_mul_i32 s31, s28, s31
	s_add_u32 s30, s30, s31
	s_mul_hi_u32 s33, s28, s1
	s_addc_u32 s29, s29, s34
	s_addc_u32 s30, s33, 0
	s_mul_i32 s1, s28, s1
	s_add_u32 s1, s29, s1
	s_addc_u32 s29, 0, s30
	s_add_u32 s30, s0, s1
	s_cselect_b64 s[0:1], -1, 0
	s_cmp_lg_u64 s[0:1], 0
	s_addc_u32 s28, s28, s29
	s_mul_i32 s0, s20, s28
	s_mul_hi_u32 s1, s20, s30
	s_add_i32 s0, s1, s0
	s_mul_i32 s21, s21, s30
	s_add_i32 s0, s0, s21
	s_mul_i32 s20, s20, s30
	s_mul_hi_u32 s21, s28, s20
	s_mul_i32 s29, s28, s20
	s_mul_i32 s33, s30, s0
	s_mul_hi_u32 s20, s30, s20
	s_mul_hi_u32 s31, s30, s0
	s_add_u32 s20, s20, s33
	s_addc_u32 s31, 0, s31
	s_add_u32 s20, s20, s29
	s_mul_hi_u32 s1, s28, s0
	s_addc_u32 s20, s31, s21
	s_addc_u32 s1, s1, 0
	s_mul_i32 s0, s28, s0
	s_add_u32 s0, s20, s0
	s_addc_u32 s20, 0, s1
	s_add_u32 s21, s30, s0
	s_cselect_b64 s[0:1], -1, 0
	s_cmp_lg_u64 s[0:1], 0
	s_addc_u32 s20, s28, s20
	v_mad_u64_u32 v[3:4], s[0:1], v0, s20, 0
	v_mul_hi_u32 v5, v0, s21
	v_add_co_u32_e32 v7, vcc, v5, v3
	v_addc_co_u32_e32 v8, vcc, 0, v4, vcc
	v_mad_u64_u32 v[3:4], s[0:1], v1, s21, 0
	v_mad_u64_u32 v[5:6], s[0:1], v1, s20, 0
	v_add_co_u32_e32 v3, vcc, v7, v3
	v_addc_co_u32_e32 v3, vcc, v8, v4, vcc
	v_addc_co_u32_e32 v4, vcc, 0, v6, vcc
	v_add_co_u32_e32 v5, vcc, v3, v5
	v_addc_co_u32_e32 v6, vcc, 0, v4, vcc
	v_mul_lo_u32 v7, s25, v5
	v_mul_lo_u32 v8, s24, v6
	v_mad_u64_u32 v[3:4], s[0:1], s24, v5, 0
	v_add3_u32 v4, v4, v8, v7
	v_sub_u32_e32 v7, v1, v4
	v_mov_b32_e32 v8, s25
	v_sub_co_u32_e32 v3, vcc, v0, v3
	v_subb_co_u32_e64 v7, s[0:1], v7, v8, vcc
	v_subrev_co_u32_e64 v8, s[0:1], s24, v3
	v_subbrev_co_u32_e64 v7, s[0:1], 0, v7, s[0:1]
	v_cmp_le_u32_e64 s[0:1], s25, v7
	v_cndmask_b32_e64 v9, 0, -1, s[0:1]
	v_cmp_le_u32_e64 s[0:1], s24, v8
	v_cndmask_b32_e64 v8, 0, -1, s[0:1]
	v_cmp_eq_u32_e64 s[0:1], s25, v7
	v_cndmask_b32_e64 v7, v9, v8, s[0:1]
	v_add_co_u32_e64 v8, s[0:1], 2, v5
	v_addc_co_u32_e64 v9, s[0:1], 0, v6, s[0:1]
	v_add_co_u32_e64 v10, s[0:1], 1, v5
	v_addc_co_u32_e64 v11, s[0:1], 0, v6, s[0:1]
	v_subb_co_u32_e32 v4, vcc, v1, v4, vcc
	v_cmp_ne_u32_e64 s[0:1], 0, v7
	v_cmp_le_u32_e32 vcc, s25, v4
	v_cndmask_b32_e64 v7, v11, v9, s[0:1]
	v_cndmask_b32_e64 v9, 0, -1, vcc
	v_cmp_le_u32_e32 vcc, s24, v3
	v_cndmask_b32_e64 v3, 0, -1, vcc
	v_cmp_eq_u32_e32 vcc, s25, v4
	v_cndmask_b32_e32 v3, v9, v3, vcc
	v_cmp_ne_u32_e32 vcc, 0, v3
	v_cndmask_b32_e64 v3, v10, v8, s[0:1]
	v_cndmask_b32_e32 v4, v6, v7, vcc
	v_cndmask_b32_e32 v3, v5, v3, vcc
.LBB10_15:
	s_andn2_saveexec_b64 s[0:1], s[2:3]
	s_cbranch_execz .LBB10_17
; %bb.16:
	v_cvt_f32_u32_e32 v3, s24
	s_sub_i32 s2, 0, s24
	v_rcp_iflag_f32_e32 v3, v3
	v_mul_f32_e32 v3, 0x4f7ffffe, v3
	v_cvt_u32_f32_e32 v3, v3
	v_mul_lo_u32 v4, s2, v3
	v_mul_hi_u32 v4, v3, v4
	v_add_u32_e32 v3, v3, v4
	v_mul_hi_u32 v3, v0, v3
	v_mul_lo_u32 v4, v3, s24
	v_add_u32_e32 v5, 1, v3
	v_sub_u32_e32 v4, v0, v4
	v_subrev_u32_e32 v6, s24, v4
	v_cmp_le_u32_e32 vcc, s24, v4
	v_cndmask_b32_e32 v4, v4, v6, vcc
	v_cndmask_b32_e32 v3, v3, v5, vcc
	v_add_u32_e32 v5, 1, v3
	v_cmp_le_u32_e32 vcc, s24, v4
	v_cndmask_b32_e32 v3, v3, v5, vcc
	v_mov_b32_e32 v4, 0
.LBB10_17:
	s_or_b64 exec, exec, s[0:1]
	v_or_b32_e32 v6, s23, v4
	v_mov_b32_e32 v5, 0
	v_cmp_ne_u64_e32 vcc, 0, v[5:6]
                                        ; implicit-def: $vgpr5_vgpr6
	s_and_saveexec_b64 s[0:1], vcc
	s_xor_b64 s[2:3], exec, s[0:1]
	s_cbranch_execnz .LBB10_20
; %bb.18:
	s_andn2_saveexec_b64 s[0:1], s[2:3]
	s_cbranch_execnz .LBB10_21
.LBB10_19:
	s_or_b64 exec, exec, s[0:1]
	s_cmp_eq_u64 s[10:11], 0
	s_cbranch_scc0 .LBB10_22
	s_branch .LBB10_44
.LBB10_20:
	v_cvt_f32_u32_e32 v5, s22
	v_cvt_f32_u32_e32 v6, s23
	s_sub_u32 s20, 0, s22
	s_subb_u32 s21, 0, s23
	v_madmk_f32 v5, v6, 0x4f800000, v5
	v_rcp_f32_e32 v5, v5
	v_mul_f32_e32 v5, 0x5f7ffffc, v5
	v_mul_f32_e32 v6, 0x2f800000, v5
	v_trunc_f32_e32 v6, v6
	v_madmk_f32 v5, v6, 0xcf800000, v5
	v_cvt_u32_f32_e32 v6, v6
	v_cvt_u32_f32_e32 v5, v5
	v_readfirstlane_b32 s28, v6
	v_readfirstlane_b32 s0, v5
	s_mul_i32 s1, s20, s28
	s_mul_hi_u32 s30, s20, s0
	s_mul_i32 s29, s21, s0
	s_add_i32 s1, s30, s1
	s_mul_i32 s31, s20, s0
	s_add_i32 s1, s1, s29
	s_mul_i32 s30, s0, s1
	s_mul_hi_u32 s33, s0, s31
	s_mul_hi_u32 s29, s0, s1
	s_add_u32 s30, s33, s30
	s_addc_u32 s29, 0, s29
	s_mul_hi_u32 s34, s28, s31
	s_mul_i32 s31, s28, s31
	s_add_u32 s30, s30, s31
	s_mul_hi_u32 s33, s28, s1
	s_addc_u32 s29, s29, s34
	s_addc_u32 s30, s33, 0
	s_mul_i32 s1, s28, s1
	s_add_u32 s1, s29, s1
	s_addc_u32 s29, 0, s30
	s_add_u32 s30, s0, s1
	s_cselect_b64 s[0:1], -1, 0
	s_cmp_lg_u64 s[0:1], 0
	s_addc_u32 s28, s28, s29
	s_mul_i32 s0, s20, s28
	s_mul_hi_u32 s1, s20, s30
	s_add_i32 s0, s1, s0
	s_mul_i32 s21, s21, s30
	s_add_i32 s0, s0, s21
	s_mul_i32 s20, s20, s30
	s_mul_hi_u32 s21, s28, s20
	s_mul_i32 s29, s28, s20
	s_mul_i32 s33, s30, s0
	s_mul_hi_u32 s20, s30, s20
	s_mul_hi_u32 s31, s30, s0
	s_add_u32 s20, s20, s33
	s_addc_u32 s31, 0, s31
	s_add_u32 s20, s20, s29
	s_mul_hi_u32 s1, s28, s0
	s_addc_u32 s20, s31, s21
	s_addc_u32 s1, s1, 0
	s_mul_i32 s0, s28, s0
	s_add_u32 s0, s20, s0
	s_addc_u32 s20, 0, s1
	s_add_u32 s21, s30, s0
	s_cselect_b64 s[0:1], -1, 0
	s_cmp_lg_u64 s[0:1], 0
	s_addc_u32 s20, s28, s20
	v_mad_u64_u32 v[5:6], s[0:1], v3, s20, 0
	v_mul_hi_u32 v7, v3, s21
	v_add_co_u32_e32 v9, vcc, v7, v5
	v_addc_co_u32_e32 v10, vcc, 0, v6, vcc
	v_mad_u64_u32 v[5:6], s[0:1], v4, s21, 0
	v_mad_u64_u32 v[7:8], s[0:1], v4, s20, 0
	v_add_co_u32_e32 v5, vcc, v9, v5
	v_addc_co_u32_e32 v5, vcc, v10, v6, vcc
	v_addc_co_u32_e32 v6, vcc, 0, v8, vcc
	v_add_co_u32_e32 v5, vcc, v5, v7
	v_addc_co_u32_e32 v6, vcc, 0, v6, vcc
	v_mul_lo_u32 v7, s23, v5
	v_mul_lo_u32 v8, s22, v6
	v_mad_u64_u32 v[5:6], s[0:1], s22, v5, 0
	v_add3_u32 v6, v6, v8, v7
	v_sub_u32_e32 v7, v4, v6
	v_mov_b32_e32 v8, s23
	v_sub_co_u32_e32 v5, vcc, v3, v5
	v_subb_co_u32_e64 v7, s[0:1], v7, v8, vcc
	v_subrev_co_u32_e64 v8, s[0:1], s22, v5
	v_subbrev_co_u32_e64 v7, s[0:1], 0, v7, s[0:1]
	v_cmp_le_u32_e64 s[0:1], s23, v7
	v_subb_co_u32_e32 v4, vcc, v4, v6, vcc
	v_cndmask_b32_e64 v9, 0, -1, s[0:1]
	v_cmp_le_u32_e64 s[0:1], s22, v8
	v_cmp_le_u32_e32 vcc, s23, v4
	v_cndmask_b32_e64 v10, 0, -1, s[0:1]
	v_cmp_eq_u32_e64 s[0:1], s23, v7
	v_cndmask_b32_e64 v6, 0, -1, vcc
	v_cmp_le_u32_e32 vcc, s22, v5
	v_cndmask_b32_e64 v7, v9, v10, s[0:1]
	v_cndmask_b32_e64 v10, 0, -1, vcc
	v_cmp_eq_u32_e32 vcc, s23, v4
	v_subrev_co_u32_e64 v9, s[0:1], s22, v8
	v_cndmask_b32_e32 v4, v6, v10, vcc
	v_cmp_ne_u32_e32 vcc, 0, v7
	v_cndmask_b32_e32 v6, v8, v9, vcc
	v_cmp_ne_u32_e32 vcc, 0, v4
	v_cndmask_b32_e32 v5, v5, v6, vcc
	s_andn2_saveexec_b64 s[0:1], s[2:3]
	s_cbranch_execz .LBB10_19
.LBB10_21:
	v_cvt_f32_u32_e32 v4, s22
	s_sub_i32 s2, 0, s22
	v_rcp_iflag_f32_e32 v4, v4
	v_mul_f32_e32 v4, 0x4f7ffffe, v4
	v_cvt_u32_f32_e32 v4, v4
	v_mul_lo_u32 v5, s2, v4
	v_mul_hi_u32 v5, v4, v5
	v_add_u32_e32 v4, v4, v5
	v_mul_hi_u32 v4, v3, v4
	v_mul_lo_u32 v4, v4, s22
	v_sub_u32_e32 v4, v3, v4
	v_subrev_u32_e32 v5, s22, v4
	v_cmp_le_u32_e32 vcc, s22, v4
	v_cndmask_b32_e32 v4, v4, v5, vcc
	v_subrev_u32_e32 v5, s22, v4
	v_cmp_le_u32_e32 vcc, s22, v4
	v_cndmask_b32_e32 v5, v4, v5, vcc
	s_or_b64 exec, exec, s[0:1]
	s_cmp_eq_u64 s[10:11], 0
	s_cbranch_scc1 .LBB10_44
.LBB10_22:
	s_mul_i32 s0, s6, s25
	s_mul_hi_u32 s1, s6, s24
	s_add_i32 s0, s1, s0
	s_mul_i32 s7, s7, s24
	s_add_i32 s22, s0, s7
	v_or_b32_e32 v7, s22, v1
	v_mov_b32_e32 v6, 0
	v_cmp_ne_u64_e32 vcc, 0, v[6:7]
	s_mul_i32 s23, s6, s24
                                        ; implicit-def: $vgpr8_vgpr9
	s_and_saveexec_b64 s[0:1], vcc
	s_xor_b64 s[2:3], exec, s[0:1]
	s_cbranch_execz .LBB10_24
; %bb.23:
	s_ashr_i32 s6, s22, 31
	s_add_u32 s0, s23, s6
	s_mov_b32 s7, s6
	s_addc_u32 s1, s22, s6
	s_xor_b64 s[20:21], s[0:1], s[6:7]
	v_cvt_f32_u32_e32 v4, s20
	v_cvt_f32_u32_e32 v6, s21
	s_sub_u32 s7, 0, s20
	s_subb_u32 s25, 0, s21
	v_madmk_f32 v4, v6, 0x4f800000, v4
	v_rcp_f32_e32 v4, v4
	v_mul_f32_e32 v4, 0x5f7ffffc, v4
	v_mul_f32_e32 v6, 0x2f800000, v4
	v_trunc_f32_e32 v6, v6
	v_madmk_f32 v4, v6, 0xcf800000, v4
	v_cvt_u32_f32_e32 v6, v6
	v_cvt_u32_f32_e32 v4, v4
	v_readfirstlane_b32 s28, v6
	v_readfirstlane_b32 s0, v4
	s_mul_i32 s1, s7, s28
	s_mul_hi_u32 s30, s7, s0
	s_mul_i32 s29, s25, s0
	s_add_i32 s1, s30, s1
	s_add_i32 s1, s1, s29
	s_mul_i32 s31, s7, s0
	s_mul_i32 s30, s0, s1
	s_mul_hi_u32 s33, s0, s31
	s_mul_hi_u32 s29, s0, s1
	s_add_u32 s30, s33, s30
	s_addc_u32 s29, 0, s29
	s_mul_hi_u32 s34, s28, s31
	s_mul_i32 s31, s28, s31
	s_add_u32 s30, s30, s31
	s_mul_hi_u32 s33, s28, s1
	s_addc_u32 s29, s29, s34
	s_addc_u32 s30, s33, 0
	s_mul_i32 s1, s28, s1
	s_add_u32 s1, s29, s1
	s_addc_u32 s29, 0, s30
	s_add_u32 s30, s0, s1
	s_cselect_b64 s[0:1], -1, 0
	s_cmp_lg_u64 s[0:1], 0
	s_addc_u32 s28, s28, s29
	s_mul_i32 s0, s7, s28
	s_mul_hi_u32 s1, s7, s30
	s_add_i32 s0, s1, s0
	s_mul_i32 s25, s25, s30
	s_add_i32 s0, s0, s25
	s_mul_i32 s7, s7, s30
	s_mul_hi_u32 s25, s28, s7
	s_mul_i32 s29, s28, s7
	s_mul_i32 s33, s30, s0
	s_mul_hi_u32 s7, s30, s7
	s_mul_hi_u32 s31, s30, s0
	s_add_u32 s7, s7, s33
	s_addc_u32 s31, 0, s31
	s_add_u32 s7, s7, s29
	s_mul_hi_u32 s1, s28, s0
	s_addc_u32 s7, s31, s25
	s_addc_u32 s1, s1, 0
	s_mul_i32 s0, s28, s0
	s_add_u32 s0, s7, s0
	s_addc_u32 s7, 0, s1
	s_add_u32 s25, s30, s0
	s_cselect_b64 s[0:1], -1, 0
	v_ashrrev_i32_e32 v4, 31, v1
	s_cmp_lg_u64 s[0:1], 0
	v_add_co_u32_e32 v6, vcc, v0, v4
	s_addc_u32 s7, s28, s7
	v_xor_b32_e32 v10, v6, v4
	v_mad_u64_u32 v[6:7], s[0:1], v10, s7, 0
	v_mul_hi_u32 v9, v10, s25
	v_addc_co_u32_e32 v8, vcc, v1, v4, vcc
	v_xor_b32_e32 v11, v8, v4
	v_add_co_u32_e32 v12, vcc, v9, v6
	v_addc_co_u32_e32 v13, vcc, 0, v7, vcc
	v_mad_u64_u32 v[6:7], s[0:1], v11, s25, 0
	v_mad_u64_u32 v[8:9], s[0:1], v11, s7, 0
	v_add_co_u32_e32 v6, vcc, v12, v6
	v_addc_co_u32_e32 v6, vcc, v13, v7, vcc
	v_addc_co_u32_e32 v7, vcc, 0, v9, vcc
	v_add_co_u32_e32 v8, vcc, v6, v8
	v_addc_co_u32_e32 v9, vcc, 0, v7, vcc
	v_mul_lo_u32 v12, s21, v8
	v_mul_lo_u32 v13, s20, v9
	v_mad_u64_u32 v[6:7], s[0:1], s20, v8, 0
	v_xor_b32_e32 v4, s6, v4
	v_add3_u32 v7, v7, v13, v12
	v_sub_u32_e32 v12, v11, v7
	v_mov_b32_e32 v13, s21
	v_sub_co_u32_e32 v6, vcc, v10, v6
	v_subb_co_u32_e64 v10, s[0:1], v12, v13, vcc
	v_subrev_co_u32_e64 v12, s[0:1], s20, v6
	v_subbrev_co_u32_e64 v10, s[0:1], 0, v10, s[0:1]
	v_cmp_le_u32_e64 s[0:1], s21, v10
	v_cndmask_b32_e64 v13, 0, -1, s[0:1]
	v_cmp_le_u32_e64 s[0:1], s20, v12
	v_cndmask_b32_e64 v12, 0, -1, s[0:1]
	v_cmp_eq_u32_e64 s[0:1], s21, v10
	v_cndmask_b32_e64 v10, v13, v12, s[0:1]
	v_add_co_u32_e64 v12, s[0:1], 2, v8
	v_subb_co_u32_e32 v7, vcc, v11, v7, vcc
	v_addc_co_u32_e64 v13, s[0:1], 0, v9, s[0:1]
	v_cmp_le_u32_e32 vcc, s21, v7
	v_add_co_u32_e64 v14, s[0:1], 1, v8
	v_cndmask_b32_e64 v11, 0, -1, vcc
	v_cmp_le_u32_e32 vcc, s20, v6
	v_addc_co_u32_e64 v15, s[0:1], 0, v9, s[0:1]
	v_cndmask_b32_e64 v6, 0, -1, vcc
	v_cmp_eq_u32_e32 vcc, s21, v7
	v_cmp_ne_u32_e64 s[0:1], 0, v10
	v_cndmask_b32_e32 v6, v11, v6, vcc
	v_cmp_ne_u32_e32 vcc, 0, v6
	v_cndmask_b32_e64 v7, v14, v12, s[0:1]
	v_cndmask_b32_e64 v10, v15, v13, s[0:1]
	v_cndmask_b32_e32 v7, v8, v7, vcc
	v_cndmask_b32_e32 v6, v9, v10, vcc
	v_xor_b32_e32 v7, v7, v4
	v_xor_b32_e32 v6, v6, v4
	v_sub_co_u32_e32 v8, vcc, v7, v4
	v_subb_co_u32_e32 v9, vcc, v6, v4, vcc
.LBB10_24:
	s_andn2_saveexec_b64 s[0:1], s[2:3]
	s_cbranch_execz .LBB10_26
; %bb.25:
	v_cvt_f32_u32_e32 v4, s23
	s_sub_i32 s2, 0, s23
	v_mov_b32_e32 v9, 0
	v_rcp_iflag_f32_e32 v4, v4
	v_mul_f32_e32 v4, 0x4f7ffffe, v4
	v_cvt_u32_f32_e32 v4, v4
	v_mul_lo_u32 v6, s2, v4
	v_mul_hi_u32 v6, v4, v6
	v_add_u32_e32 v4, v4, v6
	v_mul_hi_u32 v4, v0, v4
	v_mul_lo_u32 v6, v4, s23
	v_add_u32_e32 v7, 1, v4
	v_sub_u32_e32 v6, v0, v6
	v_subrev_u32_e32 v8, s23, v6
	v_cmp_le_u32_e32 vcc, s23, v6
	v_cndmask_b32_e32 v6, v6, v8, vcc
	v_cndmask_b32_e32 v4, v4, v7, vcc
	v_add_u32_e32 v7, 1, v4
	v_cmp_le_u32_e32 vcc, s23, v6
	v_cndmask_b32_e32 v8, v4, v7, vcc
.LBB10_26:
	s_or_b64 exec, exec, s[0:1]
	v_or_b32_e32 v7, s13, v9
	v_mov_b32_e32 v6, 0
	v_cmp_ne_u64_e32 vcc, 0, v[6:7]
                                        ; implicit-def: $vgpr6_vgpr7
	s_and_saveexec_b64 s[0:1], vcc
	s_xor_b64 s[2:3], exec, s[0:1]
	s_cbranch_execz .LBB10_28
; %bb.27:
	v_cvt_f32_u32_e32 v4, s12
	v_cvt_f32_u32_e32 v6, s13
	s_sub_u32 s6, 0, s12
	s_subb_u32 s7, 0, s13
	v_madmk_f32 v4, v6, 0x4f800000, v4
	v_rcp_f32_e32 v4, v4
	v_mul_f32_e32 v4, 0x5f7ffffc, v4
	v_mul_f32_e32 v6, 0x2f800000, v4
	v_trunc_f32_e32 v6, v6
	v_madmk_f32 v4, v6, 0xcf800000, v4
	v_cvt_u32_f32_e32 v6, v6
	v_cvt_u32_f32_e32 v4, v4
	v_readfirstlane_b32 s20, v6
	v_readfirstlane_b32 s0, v4
	s_mul_i32 s1, s6, s20
	s_mul_hi_u32 s25, s6, s0
	s_mul_i32 s21, s7, s0
	s_add_i32 s1, s25, s1
	s_mul_i32 s28, s6, s0
	s_add_i32 s1, s1, s21
	s_mul_i32 s25, s0, s1
	s_mul_hi_u32 s29, s0, s28
	s_mul_hi_u32 s21, s0, s1
	s_add_u32 s25, s29, s25
	s_addc_u32 s21, 0, s21
	s_mul_hi_u32 s30, s20, s28
	s_mul_i32 s28, s20, s28
	s_add_u32 s25, s25, s28
	s_mul_hi_u32 s29, s20, s1
	s_addc_u32 s21, s21, s30
	s_addc_u32 s25, s29, 0
	s_mul_i32 s1, s20, s1
	s_add_u32 s1, s21, s1
	s_addc_u32 s21, 0, s25
	s_add_u32 s25, s0, s1
	s_cselect_b64 s[0:1], -1, 0
	s_cmp_lg_u64 s[0:1], 0
	s_addc_u32 s20, s20, s21
	s_mul_i32 s0, s6, s20
	s_mul_hi_u32 s1, s6, s25
	s_add_i32 s0, s1, s0
	s_mul_i32 s7, s7, s25
	s_add_i32 s0, s0, s7
	s_mul_i32 s6, s6, s25
	s_mul_hi_u32 s7, s20, s6
	s_mul_i32 s21, s20, s6
	s_mul_i32 s29, s25, s0
	s_mul_hi_u32 s6, s25, s6
	s_mul_hi_u32 s28, s25, s0
	s_add_u32 s6, s6, s29
	s_addc_u32 s28, 0, s28
	s_add_u32 s6, s6, s21
	s_mul_hi_u32 s1, s20, s0
	s_addc_u32 s6, s28, s7
	s_addc_u32 s1, s1, 0
	s_mul_i32 s0, s20, s0
	s_add_u32 s0, s6, s0
	s_addc_u32 s6, 0, s1
	s_add_u32 s7, s25, s0
	s_cselect_b64 s[0:1], -1, 0
	s_cmp_lg_u64 s[0:1], 0
	s_addc_u32 s6, s20, s6
	v_mad_u64_u32 v[6:7], s[0:1], v8, s6, 0
	v_mul_hi_u32 v4, v8, s7
	v_mad_u64_u32 v[10:11], s[0:1], v9, s6, 0
	v_add_co_u32_e32 v4, vcc, v4, v6
	v_addc_co_u32_e32 v12, vcc, 0, v7, vcc
	v_mad_u64_u32 v[6:7], s[0:1], v9, s7, 0
	v_add_co_u32_e32 v4, vcc, v4, v6
	v_addc_co_u32_e32 v4, vcc, v12, v7, vcc
	v_addc_co_u32_e32 v6, vcc, 0, v11, vcc
	v_add_co_u32_e32 v4, vcc, v4, v10
	v_addc_co_u32_e32 v6, vcc, 0, v6, vcc
	v_mul_lo_u32 v10, s13, v4
	v_mul_lo_u32 v11, s12, v6
	v_mad_u64_u32 v[6:7], s[0:1], s12, v4, 0
	v_add3_u32 v4, v7, v11, v10
	v_sub_u32_e32 v7, v9, v4
	v_mov_b32_e32 v10, s13
	v_sub_co_u32_e32 v6, vcc, v8, v6
	v_subb_co_u32_e64 v7, s[0:1], v7, v10, vcc
	v_subrev_co_u32_e64 v8, s[0:1], s12, v6
	v_subbrev_co_u32_e64 v7, s[0:1], 0, v7, s[0:1]
	v_cmp_le_u32_e64 s[0:1], s13, v7
	v_subb_co_u32_e32 v4, vcc, v9, v4, vcc
	v_cndmask_b32_e64 v10, 0, -1, s[0:1]
	v_cmp_le_u32_e64 s[0:1], s12, v8
	v_cmp_le_u32_e32 vcc, s13, v4
	v_cndmask_b32_e64 v11, 0, -1, s[0:1]
	v_cmp_eq_u32_e64 s[0:1], s13, v7
	v_cndmask_b32_e64 v9, 0, -1, vcc
	v_cmp_le_u32_e32 vcc, s12, v6
	v_cndmask_b32_e64 v7, v10, v11, s[0:1]
	v_cndmask_b32_e64 v11, 0, -1, vcc
	v_cmp_eq_u32_e32 vcc, s13, v4
	v_subrev_co_u32_e64 v10, s[0:1], s12, v8
	v_cndmask_b32_e32 v4, v9, v11, vcc
	v_cmp_ne_u32_e32 vcc, 0, v7
	v_cndmask_b32_e32 v7, v8, v10, vcc
	v_cmp_ne_u32_e32 vcc, 0, v4
	v_cndmask_b32_e32 v6, v6, v7, vcc
                                        ; implicit-def: $vgpr8_vgpr9
.LBB10_28:
	s_andn2_saveexec_b64 s[0:1], s[2:3]
	s_cbranch_execz .LBB10_30
; %bb.29:
	v_cvt_f32_u32_e32 v4, s12
	s_sub_i32 s2, 0, s12
	v_rcp_iflag_f32_e32 v4, v4
	v_mul_f32_e32 v4, 0x4f7ffffe, v4
	v_cvt_u32_f32_e32 v4, v4
	v_mul_lo_u32 v6, s2, v4
	v_mul_hi_u32 v6, v4, v6
	v_add_u32_e32 v4, v4, v6
	v_mul_hi_u32 v4, v8, v4
	v_mul_lo_u32 v4, v4, s12
	v_sub_u32_e32 v4, v8, v4
	v_subrev_u32_e32 v6, s12, v4
	v_cmp_le_u32_e32 vcc, s12, v4
	v_cndmask_b32_e32 v4, v4, v6, vcc
	v_subrev_u32_e32 v6, s12, v4
	v_cmp_le_u32_e32 vcc, s12, v4
	v_cndmask_b32_e32 v6, v4, v6, vcc
.LBB10_30:
	s_or_b64 exec, exec, s[0:1]
	s_mul_i32 s0, s18, s17
	s_mul_hi_u32 s1, s18, s16
	s_add_i32 s0, s1, s0
	s_mul_i32 s1, s19, s16
	s_add_i32 s30, s0, s1
	s_load_dwordx4 s[0:3], s[4:5], 0x50
	v_cvt_f32_i32_e32 v4, v5
	v_add_u32_e32 v5, 1, v5
	v_cvt_f32_i32_e32 v5, v5
	v_mul_lo_u32 v3, v3, s24
	s_waitcnt lgkmcnt(0)
	v_mul_f32_e32 v4, s1, v4
	v_ceil_f32_e32 v4, v4
	v_mul_f32_e32 v5, s1, v5
	v_ceil_f32_e32 v5, v5
	v_sub_u32_e32 v3, v0, v3
	v_cvt_i32_f32_e32 v5, v5
	v_cvt_f32_i32_e32 v7, v3
	v_add_u32_e32 v3, 1, v3
	v_cvt_f32_i32_e32 v3, v3
	v_min_i32_e32 v9, s16, v5
	v_mul_f32_e32 v5, s2, v7
	v_cvt_f32_i32_e32 v7, v2
	v_add_u32_e32 v2, 1, v2
	v_cvt_f32_i32_e32 v2, v2
	v_mul_f32_e32 v3, s2, v3
	v_ceil_f32_e32 v3, v3
	v_mul_f32_e32 v7, s0, v7
	v_mul_f32_e32 v2, s0, v2
	v_ceil_f32_e32 v2, v2
	v_ceil_f32_e32 v5, v5
	v_cvt_i32_f32_e32 v3, v3
	v_ceil_f32_e32 v7, v7
	v_cvt_i32_f32_e32 v2, v2
	v_cvt_i32_f32_e32 v4, v4
	;; [unrolled: 1-line block ×4, first 2 shown]
	s_mul_i32 s31, s18, s16
	s_mul_i32 s0, s31, s15
	s_mul_hi_u32 s1, s31, s14
	s_mul_i32 s6, s23, s13
	s_mul_hi_u32 s7, s23, s12
	v_min_i32_e32 v11, s18, v3
	v_min_i32_e32 v13, s14, v2
	s_add_i32 s0, s1, s0
	s_mul_i32 s1, s30, s14
	s_add_i32 s6, s7, s6
	s_mul_i32 s7, s22, s12
	v_min_i32_e32 v8, s16, v4
	v_min_i32_e32 v10, s18, v5
	;; [unrolled: 1-line block ×3, first 2 shown]
	s_add_i32 s33, s0, s1
	s_mul_i32 s34, s31, s14
	v_cmp_gt_i32_e64 s[0:1], v13, v7
	v_cmp_gt_i32_e64 s[2:3], v9, v4
	;; [unrolled: 1-line block ×3, first 2 shown]
	v_ashrrev_i32_e32 v7, 31, v6
	s_add_i32 s35, s6, s7
	s_mul_i32 s36, s23, s12
	s_mov_b64 s[14:15], 0
	s_branch .LBB10_33
.LBB10_31:                              ;   in Loop: Header=BB10_33 Depth=1
	s_or_b64 exec, exec, s[16:17]
.LBB10_32:                              ;   in Loop: Header=BB10_33 Depth=1
	s_or_b64 exec, exec, s[6:7]
	v_lshlrev_b64 v[4:5], 3, v[0:1]
	v_mov_b32_e32 v14, s27
	v_add_co_u32_e32 v4, vcc, s26, v4
	v_addc_co_u32_e32 v5, vcc, v14, v5, vcc
	s_add_u32 s14, s14, 1
	global_store_dwordx2 v[4:5], v[2:3], off
	s_addc_u32 s15, s15, 0
	v_mov_b32_e32 v2, s14
	v_mov_b32_e32 v3, s15
	v_cmp_le_u64_e32 vcc, s[10:11], v[2:3]
	v_mov_b32_e32 v4, s35
	v_add_co_u32_e64 v0, s[6:7], s36, v0
	v_addc_co_u32_e64 v1, s[6:7], v1, v4, s[6:7]
	s_cbranch_vccnz .LBB10_44
.LBB10_33:                              ; =>This Loop Header: Depth=1
                                        ;     Child Loop BB10_37 Depth 2
                                        ;       Child Loop BB10_40 Depth 3
                                        ;         Child Loop BB10_42 Depth 4
	v_mov_b32_e32 v2, 0
	v_mov_b32_e32 v3, 0
	s_and_saveexec_b64 s[6:7], s[0:1]
	s_cbranch_execz .LBB10_32
; %bb.34:                               ;   in Loop: Header=BB10_33 Depth=1
	v_mov_b32_e32 v2, s12
	v_mad_u64_u32 v[2:3], s[16:17], s14, v2, v[6:7]
	s_mul_i32 s16, s15, s12
	s_mul_i32 s17, s14, s13
	s_add_i32 s17, s17, s16
	v_add_u32_e32 v3, s17, v3
	v_mul_lo_u32 v4, s34, v3
	v_mul_lo_u32 v5, s33, v2
	v_mad_u64_u32 v[2:3], s[16:17], s34, v2, 0
	s_mov_b64 s[16:17], 0
	v_mov_b32_e32 v16, v12
	v_add3_u32 v3, v3, v4, v5
	v_lshlrev_b64 v[2:3], 3, v[2:3]
	v_mov_b32_e32 v4, s9
	v_add_co_u32_e32 v14, vcc, s8, v2
	v_addc_co_u32_e32 v15, vcc, v4, v3, vcc
	v_mov_b32_e32 v2, 0
	v_mov_b32_e32 v3, 0
	s_branch .LBB10_37
.LBB10_35:                              ;   in Loop: Header=BB10_37 Depth=2
	s_or_b64 exec, exec, s[22:23]
.LBB10_36:                              ;   in Loop: Header=BB10_37 Depth=2
	s_or_b64 exec, exec, s[20:21]
	v_add_u32_e32 v16, 1, v16
	v_cmp_ge_i32_e32 vcc, v16, v13
	s_or_b64 s[16:17], vcc, s[16:17]
	s_andn2_b64 exec, exec, s[16:17]
	s_cbranch_execz .LBB10_31
.LBB10_37:                              ;   Parent Loop BB10_33 Depth=1
                                        ; =>  This Loop Header: Depth=2
                                        ;       Child Loop BB10_40 Depth 3
                                        ;         Child Loop BB10_42 Depth 4
	s_and_saveexec_b64 s[20:21], s[2:3]
	s_cbranch_execz .LBB10_36
; %bb.38:                               ;   in Loop: Header=BB10_37 Depth=2
	v_ashrrev_i32_e32 v17, 31, v16
	v_mul_lo_u32 v18, s30, v16
	v_mad_u64_u32 v[4:5], s[22:23], s31, v16, 0
	v_mul_lo_u32 v17, s31, v17
	s_mov_b64 s[22:23], 0
	v_mov_b32_e32 v19, v8
	v_add3_u32 v5, v5, v17, v18
	v_lshlrev_b64 v[4:5], 3, v[4:5]
	v_add_co_u32_e32 v17, vcc, v14, v4
	v_addc_co_u32_e32 v18, vcc, v15, v5, vcc
	s_branch .LBB10_40
.LBB10_39:                              ;   in Loop: Header=BB10_40 Depth=3
	s_or_b64 exec, exec, s[24:25]
	v_add_u32_e32 v19, 1, v19
	v_cmp_ge_i32_e32 vcc, v19, v9
	s_or_b64 s[22:23], vcc, s[22:23]
	s_andn2_b64 exec, exec, s[22:23]
	s_cbranch_execz .LBB10_35
.LBB10_40:                              ;   Parent Loop BB10_33 Depth=1
                                        ;     Parent Loop BB10_37 Depth=2
                                        ; =>    This Loop Header: Depth=3
                                        ;         Child Loop BB10_42 Depth 4
	s_and_saveexec_b64 s[24:25], s[4:5]
	s_cbranch_execz .LBB10_39
; %bb.41:                               ;   in Loop: Header=BB10_40 Depth=3
	v_ashrrev_i32_e32 v20, 31, v19
	v_mul_lo_u32 v21, s19, v19
	v_mad_u64_u32 v[4:5], s[28:29], s18, v19, 0
	v_mul_lo_u32 v20, s18, v20
	s_mov_b64 s[28:29], 0
	v_add3_u32 v5, v5, v20, v21
	v_lshlrev_b64 v[4:5], 3, v[4:5]
	v_add_co_u32_e32 v20, vcc, v17, v4
	v_addc_co_u32_e32 v21, vcc, v18, v5, vcc
	v_mov_b32_e32 v4, v10
.LBB10_42:                              ;   Parent Loop BB10_33 Depth=1
                                        ;     Parent Loop BB10_37 Depth=2
                                        ;       Parent Loop BB10_40 Depth=3
                                        ; =>      This Inner Loop Header: Depth=4
	v_ashrrev_i32_e32 v5, 31, v4
	v_lshlrev_b64 v[22:23], 3, v[4:5]
	v_add_u32_e32 v4, 1, v4
	v_add_co_u32_e32 v22, vcc, v20, v22
	v_addc_co_u32_e32 v23, vcc, v21, v23, vcc
	global_load_dwordx2 v[22:23], v[22:23], off
	v_cmp_ge_i32_e32 vcc, v4, v11
	s_or_b64 s[28:29], vcc, s[28:29]
	s_waitcnt vmcnt(0)
	v_add_f64 v[2:3], v[2:3], v[22:23]
	s_andn2_b64 exec, exec, s[28:29]
	s_cbranch_execnz .LBB10_42
; %bb.43:                               ;   in Loop: Header=BB10_40 Depth=3
	s_or_b64 exec, exec, s[28:29]
	s_branch .LBB10_39
.LBB10_44:
	s_endpgm
	.section	.rodata,"a",@progbits
	.p2align	6, 0x0
	.amdhsa_kernel _ZN2at6native12_GLOBAL__N_137upsample_nearest3d_backward_out_frameIddXadL_ZNS0_40nearest_neighbor_bw_compute_source_indexEfiiEEEEvPKT_mmmmmmmmPS3_fff
		.amdhsa_group_segment_fixed_size 0
		.amdhsa_private_segment_fixed_size 0
		.amdhsa_kernarg_size 352
		.amdhsa_user_sgpr_count 6
		.amdhsa_user_sgpr_private_segment_buffer 1
		.amdhsa_user_sgpr_dispatch_ptr 0
		.amdhsa_user_sgpr_queue_ptr 0
		.amdhsa_user_sgpr_kernarg_segment_ptr 1
		.amdhsa_user_sgpr_dispatch_id 0
		.amdhsa_user_sgpr_flat_scratch_init 0
		.amdhsa_user_sgpr_private_segment_size 0
		.amdhsa_uses_dynamic_stack 0
		.amdhsa_system_sgpr_private_segment_wavefront_offset 0
		.amdhsa_system_sgpr_workgroup_id_x 1
		.amdhsa_system_sgpr_workgroup_id_y 0
		.amdhsa_system_sgpr_workgroup_id_z 0
		.amdhsa_system_sgpr_workgroup_info 0
		.amdhsa_system_vgpr_workitem_id 0
		.amdhsa_next_free_vgpr 24
		.amdhsa_next_free_sgpr 37
		.amdhsa_reserve_vcc 1
		.amdhsa_reserve_flat_scratch 0
		.amdhsa_float_round_mode_32 0
		.amdhsa_float_round_mode_16_64 0
		.amdhsa_float_denorm_mode_32 3
		.amdhsa_float_denorm_mode_16_64 3
		.amdhsa_dx10_clamp 1
		.amdhsa_ieee_mode 1
		.amdhsa_fp16_overflow 0
		.amdhsa_exception_fp_ieee_invalid_op 0
		.amdhsa_exception_fp_denorm_src 0
		.amdhsa_exception_fp_ieee_div_zero 0
		.amdhsa_exception_fp_ieee_overflow 0
		.amdhsa_exception_fp_ieee_underflow 0
		.amdhsa_exception_fp_ieee_inexact 0
		.amdhsa_exception_int_div_zero 0
	.end_amdhsa_kernel
	.section	.text._ZN2at6native12_GLOBAL__N_137upsample_nearest3d_backward_out_frameIddXadL_ZNS0_40nearest_neighbor_bw_compute_source_indexEfiiEEEEvPKT_mmmmmmmmPS3_fff,"axG",@progbits,_ZN2at6native12_GLOBAL__N_137upsample_nearest3d_backward_out_frameIddXadL_ZNS0_40nearest_neighbor_bw_compute_source_indexEfiiEEEEvPKT_mmmmmmmmPS3_fff,comdat
.Lfunc_end10:
	.size	_ZN2at6native12_GLOBAL__N_137upsample_nearest3d_backward_out_frameIddXadL_ZNS0_40nearest_neighbor_bw_compute_source_indexEfiiEEEEvPKT_mmmmmmmmPS3_fff, .Lfunc_end10-_ZN2at6native12_GLOBAL__N_137upsample_nearest3d_backward_out_frameIddXadL_ZNS0_40nearest_neighbor_bw_compute_source_indexEfiiEEEEvPKT_mmmmmmmmPS3_fff
                                        ; -- End function
	.set _ZN2at6native12_GLOBAL__N_137upsample_nearest3d_backward_out_frameIddXadL_ZNS0_40nearest_neighbor_bw_compute_source_indexEfiiEEEEvPKT_mmmmmmmmPS3_fff.num_vgpr, 24
	.set _ZN2at6native12_GLOBAL__N_137upsample_nearest3d_backward_out_frameIddXadL_ZNS0_40nearest_neighbor_bw_compute_source_indexEfiiEEEEvPKT_mmmmmmmmPS3_fff.num_agpr, 0
	.set _ZN2at6native12_GLOBAL__N_137upsample_nearest3d_backward_out_frameIddXadL_ZNS0_40nearest_neighbor_bw_compute_source_indexEfiiEEEEvPKT_mmmmmmmmPS3_fff.numbered_sgpr, 37
	.set _ZN2at6native12_GLOBAL__N_137upsample_nearest3d_backward_out_frameIddXadL_ZNS0_40nearest_neighbor_bw_compute_source_indexEfiiEEEEvPKT_mmmmmmmmPS3_fff.num_named_barrier, 0
	.set _ZN2at6native12_GLOBAL__N_137upsample_nearest3d_backward_out_frameIddXadL_ZNS0_40nearest_neighbor_bw_compute_source_indexEfiiEEEEvPKT_mmmmmmmmPS3_fff.private_seg_size, 0
	.set _ZN2at6native12_GLOBAL__N_137upsample_nearest3d_backward_out_frameIddXadL_ZNS0_40nearest_neighbor_bw_compute_source_indexEfiiEEEEvPKT_mmmmmmmmPS3_fff.uses_vcc, 1
	.set _ZN2at6native12_GLOBAL__N_137upsample_nearest3d_backward_out_frameIddXadL_ZNS0_40nearest_neighbor_bw_compute_source_indexEfiiEEEEvPKT_mmmmmmmmPS3_fff.uses_flat_scratch, 0
	.set _ZN2at6native12_GLOBAL__N_137upsample_nearest3d_backward_out_frameIddXadL_ZNS0_40nearest_neighbor_bw_compute_source_indexEfiiEEEEvPKT_mmmmmmmmPS3_fff.has_dyn_sized_stack, 0
	.set _ZN2at6native12_GLOBAL__N_137upsample_nearest3d_backward_out_frameIddXadL_ZNS0_40nearest_neighbor_bw_compute_source_indexEfiiEEEEvPKT_mmmmmmmmPS3_fff.has_recursion, 0
	.set _ZN2at6native12_GLOBAL__N_137upsample_nearest3d_backward_out_frameIddXadL_ZNS0_40nearest_neighbor_bw_compute_source_indexEfiiEEEEvPKT_mmmmmmmmPS3_fff.has_indirect_call, 0
	.section	.AMDGPU.csdata,"",@progbits
; Kernel info:
; codeLenInByte = 5624
; TotalNumSgprs: 41
; NumVgprs: 24
; ScratchSize: 0
; MemoryBound: 0
; FloatMode: 240
; IeeeMode: 1
; LDSByteSize: 0 bytes/workgroup (compile time only)
; SGPRBlocks: 5
; VGPRBlocks: 5
; NumSGPRsForWavesPerEU: 41
; NumVGPRsForWavesPerEU: 24
; Occupancy: 10
; WaveLimiterHint : 0
; COMPUTE_PGM_RSRC2:SCRATCH_EN: 0
; COMPUTE_PGM_RSRC2:USER_SGPR: 6
; COMPUTE_PGM_RSRC2:TRAP_HANDLER: 0
; COMPUTE_PGM_RSRC2:TGID_X_EN: 1
; COMPUTE_PGM_RSRC2:TGID_Y_EN: 0
; COMPUTE_PGM_RSRC2:TGID_Z_EN: 0
; COMPUTE_PGM_RSRC2:TIDIG_COMP_CNT: 0
	.section	.text._ZN2at6native12_GLOBAL__N_137upsample_nearest3d_backward_out_frameIffXadL_ZNS0_40nearest_neighbor_bw_compute_source_indexEfiiEEEEvPKT_mmmmmmmmPS3_fff,"axG",@progbits,_ZN2at6native12_GLOBAL__N_137upsample_nearest3d_backward_out_frameIffXadL_ZNS0_40nearest_neighbor_bw_compute_source_indexEfiiEEEEvPKT_mmmmmmmmPS3_fff,comdat
	.globl	_ZN2at6native12_GLOBAL__N_137upsample_nearest3d_backward_out_frameIffXadL_ZNS0_40nearest_neighbor_bw_compute_source_indexEfiiEEEEvPKT_mmmmmmmmPS3_fff ; -- Begin function _ZN2at6native12_GLOBAL__N_137upsample_nearest3d_backward_out_frameIffXadL_ZNS0_40nearest_neighbor_bw_compute_source_indexEfiiEEEEvPKT_mmmmmmmmPS3_fff
	.p2align	8
	.type	_ZN2at6native12_GLOBAL__N_137upsample_nearest3d_backward_out_frameIffXadL_ZNS0_40nearest_neighbor_bw_compute_source_indexEfiiEEEEvPKT_mmmmmmmmPS3_fff,@function
_ZN2at6native12_GLOBAL__N_137upsample_nearest3d_backward_out_frameIffXadL_ZNS0_40nearest_neighbor_bw_compute_source_indexEfiiEEEEvPKT_mmmmmmmmPS3_fff: ; @_ZN2at6native12_GLOBAL__N_137upsample_nearest3d_backward_out_frameIffXadL_ZNS0_40nearest_neighbor_bw_compute_source_indexEfiiEEEEvPKT_mmmmmmmmPS3_fff
; %bb.0:
	s_load_dword s0, s[4:5], 0x6c
	s_load_dwordx4 s[24:27], s[4:5], 0x40
	s_load_dwordx16 s[8:23], s[4:5], 0x0
	v_mov_b32_e32 v2, 0
	v_mov_b32_e32 v1, v2
	s_waitcnt lgkmcnt(0)
	s_and_b32 s0, s0, 0xffff
	v_mov_b32_e32 v3, s6
	v_mad_u64_u32 v[0:1], s[0:1], s0, v3, v[0:1]
	s_mul_i32 s0, s22, s21
	s_mul_hi_u32 s1, s22, s20
	s_add_i32 s7, s1, s0
	s_mul_i32 s0, s23, s20
	s_mul_i32 s6, s22, s20
	s_add_i32 s7, s7, s0
	s_mul_i32 s0, s6, s13
	s_mul_hi_u32 s1, s6, s12
	s_add_i32 s0, s1, s0
	s_mul_i32 s1, s7, s12
	s_mul_i32 s2, s6, s12
	s_add_i32 s0, s0, s1
	s_mul_i32 s1, s2, s25
	s_mul_hi_u32 s3, s2, s24
	s_mul_i32 s0, s0, s24
	s_add_i32 s1, s3, s1
	s_add_i32 s1, s1, s0
	s_mul_i32 s0, s2, s24
	v_cmp_gt_u64_e32 vcc, s[0:1], v[0:1]
	s_and_saveexec_b64 s[0:1], vcc
	s_cbranch_execz .LBB11_44
; %bb.1:
	v_or_b32_e32 v3, s23, v1
	v_cmp_ne_u64_e32 vcc, 0, v[2:3]
                                        ; implicit-def: $vgpr2_vgpr3
	s_and_saveexec_b64 s[0:1], vcc
	s_xor_b64 s[2:3], exec, s[0:1]
	s_cbranch_execz .LBB11_3
; %bb.2:
	v_cvt_f32_u32_e32 v2, s22
	v_cvt_f32_u32_e32 v3, s23
	s_sub_u32 s28, 0, s22
	s_subb_u32 s29, 0, s23
	v_madmk_f32 v2, v3, 0x4f800000, v2
	v_rcp_f32_e32 v2, v2
	v_mul_f32_e32 v2, 0x5f7ffffc, v2
	v_mul_f32_e32 v3, 0x2f800000, v2
	v_trunc_f32_e32 v3, v3
	v_madmk_f32 v2, v3, 0xcf800000, v2
	v_cvt_u32_f32_e32 v3, v3
	v_cvt_u32_f32_e32 v2, v2
	v_readfirstlane_b32 s30, v3
	v_readfirstlane_b32 s0, v2
	s_mul_i32 s1, s28, s30
	s_mul_hi_u32 s33, s28, s0
	s_mul_i32 s31, s29, s0
	s_add_i32 s1, s33, s1
	s_mul_i32 s34, s28, s0
	s_add_i32 s1, s1, s31
	s_mul_i32 s33, s0, s1
	s_mul_hi_u32 s35, s0, s34
	s_mul_hi_u32 s31, s0, s1
	s_add_u32 s33, s35, s33
	s_addc_u32 s31, 0, s31
	s_mul_hi_u32 s36, s30, s34
	s_mul_i32 s34, s30, s34
	s_add_u32 s33, s33, s34
	s_mul_hi_u32 s35, s30, s1
	s_addc_u32 s31, s31, s36
	s_addc_u32 s33, s35, 0
	s_mul_i32 s1, s30, s1
	s_add_u32 s1, s31, s1
	s_addc_u32 s31, 0, s33
	s_add_u32 s33, s0, s1
	s_cselect_b64 s[0:1], -1, 0
	s_cmp_lg_u64 s[0:1], 0
	s_addc_u32 s30, s30, s31
	s_mul_i32 s0, s28, s30
	s_mul_hi_u32 s1, s28, s33
	s_add_i32 s0, s1, s0
	s_mul_i32 s29, s29, s33
	s_add_i32 s0, s0, s29
	s_mul_i32 s28, s28, s33
	s_mul_hi_u32 s29, s30, s28
	s_mul_i32 s31, s30, s28
	s_mul_i32 s35, s33, s0
	s_mul_hi_u32 s28, s33, s28
	s_mul_hi_u32 s34, s33, s0
	s_add_u32 s28, s28, s35
	s_addc_u32 s34, 0, s34
	s_add_u32 s28, s28, s31
	s_mul_hi_u32 s1, s30, s0
	s_addc_u32 s28, s34, s29
	s_addc_u32 s1, s1, 0
	s_mul_i32 s0, s30, s0
	s_add_u32 s0, s28, s0
	s_addc_u32 s28, 0, s1
	s_add_u32 s29, s33, s0
	s_cselect_b64 s[0:1], -1, 0
	s_cmp_lg_u64 s[0:1], 0
	s_addc_u32 s28, s30, s28
	v_mad_u64_u32 v[2:3], s[0:1], v0, s28, 0
	v_mul_hi_u32 v4, v0, s29
	v_add_co_u32_e32 v6, vcc, v4, v2
	v_addc_co_u32_e32 v7, vcc, 0, v3, vcc
	v_mad_u64_u32 v[2:3], s[0:1], v1, s29, 0
	v_mad_u64_u32 v[4:5], s[0:1], v1, s28, 0
	v_add_co_u32_e32 v2, vcc, v6, v2
	v_addc_co_u32_e32 v2, vcc, v7, v3, vcc
	v_addc_co_u32_e32 v3, vcc, 0, v5, vcc
	v_add_co_u32_e32 v4, vcc, v2, v4
	v_addc_co_u32_e32 v5, vcc, 0, v3, vcc
	v_mul_lo_u32 v6, s23, v4
	v_mul_lo_u32 v7, s22, v5
	v_mad_u64_u32 v[2:3], s[0:1], s22, v4, 0
	v_add3_u32 v3, v3, v7, v6
	v_sub_u32_e32 v6, v1, v3
	v_mov_b32_e32 v7, s23
	v_sub_co_u32_e32 v2, vcc, v0, v2
	v_subb_co_u32_e64 v6, s[0:1], v6, v7, vcc
	v_subrev_co_u32_e64 v7, s[0:1], s22, v2
	v_subbrev_co_u32_e64 v6, s[0:1], 0, v6, s[0:1]
	v_cmp_le_u32_e64 s[0:1], s23, v6
	v_cndmask_b32_e64 v8, 0, -1, s[0:1]
	v_cmp_le_u32_e64 s[0:1], s22, v7
	v_cndmask_b32_e64 v7, 0, -1, s[0:1]
	v_cmp_eq_u32_e64 s[0:1], s23, v6
	v_cndmask_b32_e64 v6, v8, v7, s[0:1]
	v_add_co_u32_e64 v7, s[0:1], 2, v4
	v_addc_co_u32_e64 v8, s[0:1], 0, v5, s[0:1]
	v_add_co_u32_e64 v9, s[0:1], 1, v4
	v_addc_co_u32_e64 v10, s[0:1], 0, v5, s[0:1]
	v_subb_co_u32_e32 v3, vcc, v1, v3, vcc
	v_cmp_ne_u32_e64 s[0:1], 0, v6
	v_cmp_le_u32_e32 vcc, s23, v3
	v_cndmask_b32_e64 v6, v10, v8, s[0:1]
	v_cndmask_b32_e64 v8, 0, -1, vcc
	v_cmp_le_u32_e32 vcc, s22, v2
	v_cndmask_b32_e64 v2, 0, -1, vcc
	v_cmp_eq_u32_e32 vcc, s23, v3
	v_cndmask_b32_e32 v2, v8, v2, vcc
	v_cmp_ne_u32_e32 vcc, 0, v2
	v_cndmask_b32_e64 v2, v9, v7, s[0:1]
	v_cndmask_b32_e32 v3, v5, v6, vcc
	v_cndmask_b32_e32 v2, v4, v2, vcc
.LBB11_3:
	s_andn2_saveexec_b64 s[0:1], s[2:3]
	s_cbranch_execz .LBB11_5
; %bb.4:
	v_cvt_f32_u32_e32 v2, s22
	s_sub_i32 s2, 0, s22
	v_rcp_iflag_f32_e32 v2, v2
	v_mul_f32_e32 v2, 0x4f7ffffe, v2
	v_cvt_u32_f32_e32 v2, v2
	v_mul_lo_u32 v3, s2, v2
	v_mul_hi_u32 v3, v2, v3
	v_add_u32_e32 v2, v2, v3
	v_mul_hi_u32 v2, v0, v2
	v_mul_lo_u32 v3, v2, s22
	v_add_u32_e32 v4, 1, v2
	v_sub_u32_e32 v3, v0, v3
	v_subrev_u32_e32 v5, s22, v3
	v_cmp_le_u32_e32 vcc, s22, v3
	v_cndmask_b32_e32 v3, v3, v5, vcc
	v_cndmask_b32_e32 v2, v2, v4, vcc
	v_add_u32_e32 v4, 1, v2
	v_cmp_le_u32_e32 vcc, s22, v3
	v_cndmask_b32_e32 v2, v2, v4, vcc
	v_mov_b32_e32 v3, 0
.LBB11_5:
	s_or_b64 exec, exec, s[0:1]
	v_or_b32_e32 v5, s25, v3
	v_mov_b32_e32 v4, 0
	v_cmp_ne_u64_e32 vcc, 0, v[4:5]
                                        ; implicit-def: $vgpr4_vgpr5
	s_and_saveexec_b64 s[0:1], vcc
	s_xor_b64 s[2:3], exec, s[0:1]
	s_cbranch_execz .LBB11_7
; %bb.6:
	v_cvt_f32_u32_e32 v4, s24
	v_cvt_f32_u32_e32 v5, s25
	s_sub_u32 s28, 0, s24
	s_subb_u32 s29, 0, s25
	v_madmk_f32 v4, v5, 0x4f800000, v4
	v_rcp_f32_e32 v4, v4
	v_mul_f32_e32 v4, 0x5f7ffffc, v4
	v_mul_f32_e32 v5, 0x2f800000, v4
	v_trunc_f32_e32 v5, v5
	v_madmk_f32 v4, v5, 0xcf800000, v4
	v_cvt_u32_f32_e32 v5, v5
	v_cvt_u32_f32_e32 v4, v4
	v_readfirstlane_b32 s30, v5
	v_readfirstlane_b32 s0, v4
	s_mul_i32 s1, s28, s30
	s_mul_hi_u32 s33, s28, s0
	s_mul_i32 s31, s29, s0
	s_add_i32 s1, s33, s1
	s_mul_i32 s34, s28, s0
	s_add_i32 s1, s1, s31
	s_mul_i32 s33, s0, s1
	s_mul_hi_u32 s35, s0, s34
	s_mul_hi_u32 s31, s0, s1
	s_add_u32 s33, s35, s33
	s_addc_u32 s31, 0, s31
	s_mul_hi_u32 s36, s30, s34
	s_mul_i32 s34, s30, s34
	s_add_u32 s33, s33, s34
	s_mul_hi_u32 s35, s30, s1
	s_addc_u32 s31, s31, s36
	s_addc_u32 s33, s35, 0
	s_mul_i32 s1, s30, s1
	s_add_u32 s1, s31, s1
	s_addc_u32 s31, 0, s33
	s_add_u32 s33, s0, s1
	s_cselect_b64 s[0:1], -1, 0
	s_cmp_lg_u64 s[0:1], 0
	s_addc_u32 s30, s30, s31
	s_mul_i32 s0, s28, s30
	s_mul_hi_u32 s1, s28, s33
	s_add_i32 s0, s1, s0
	s_mul_i32 s29, s29, s33
	s_add_i32 s0, s0, s29
	s_mul_i32 s28, s28, s33
	s_mul_hi_u32 s29, s30, s28
	s_mul_i32 s31, s30, s28
	s_mul_i32 s35, s33, s0
	s_mul_hi_u32 s28, s33, s28
	s_mul_hi_u32 s34, s33, s0
	s_add_u32 s28, s28, s35
	s_addc_u32 s34, 0, s34
	s_add_u32 s28, s28, s31
	s_mul_hi_u32 s1, s30, s0
	s_addc_u32 s28, s34, s29
	s_addc_u32 s1, s1, 0
	s_mul_i32 s0, s30, s0
	s_add_u32 s0, s28, s0
	s_addc_u32 s28, 0, s1
	s_add_u32 s29, s33, s0
	s_cselect_b64 s[0:1], -1, 0
	s_cmp_lg_u64 s[0:1], 0
	s_addc_u32 s28, s30, s28
	v_mad_u64_u32 v[4:5], s[0:1], v2, s28, 0
	v_mul_hi_u32 v6, v2, s29
	v_add_co_u32_e32 v8, vcc, v6, v4
	v_addc_co_u32_e32 v9, vcc, 0, v5, vcc
	v_mad_u64_u32 v[4:5], s[0:1], v3, s29, 0
	v_mad_u64_u32 v[6:7], s[0:1], v3, s28, 0
	v_add_co_u32_e32 v4, vcc, v8, v4
	v_addc_co_u32_e32 v4, vcc, v9, v5, vcc
	v_addc_co_u32_e32 v5, vcc, 0, v7, vcc
	v_add_co_u32_e32 v6, vcc, v4, v6
	v_addc_co_u32_e32 v7, vcc, 0, v5, vcc
	v_mul_lo_u32 v8, s25, v6
	v_mul_lo_u32 v9, s24, v7
	v_mad_u64_u32 v[4:5], s[0:1], s24, v6, 0
	v_add3_u32 v5, v5, v9, v8
	v_sub_u32_e32 v8, v3, v5
	v_mov_b32_e32 v9, s25
	v_sub_co_u32_e32 v2, vcc, v2, v4
	v_subb_co_u32_e64 v4, s[0:1], v8, v9, vcc
	v_subrev_co_u32_e64 v8, s[0:1], s24, v2
	v_subbrev_co_u32_e64 v4, s[0:1], 0, v4, s[0:1]
	v_cmp_le_u32_e64 s[0:1], s25, v4
	v_cndmask_b32_e64 v9, 0, -1, s[0:1]
	v_cmp_le_u32_e64 s[0:1], s24, v8
	v_cndmask_b32_e64 v8, 0, -1, s[0:1]
	v_cmp_eq_u32_e64 s[0:1], s25, v4
	v_cndmask_b32_e64 v4, v9, v8, s[0:1]
	v_add_co_u32_e64 v8, s[0:1], 2, v6
	v_subb_co_u32_e32 v3, vcc, v3, v5, vcc
	v_addc_co_u32_e64 v9, s[0:1], 0, v7, s[0:1]
	v_cmp_le_u32_e32 vcc, s25, v3
	v_add_co_u32_e64 v10, s[0:1], 1, v6
	v_cndmask_b32_e64 v5, 0, -1, vcc
	v_cmp_le_u32_e32 vcc, s24, v2
	v_addc_co_u32_e64 v11, s[0:1], 0, v7, s[0:1]
	v_cndmask_b32_e64 v2, 0, -1, vcc
	v_cmp_eq_u32_e32 vcc, s25, v3
	v_cmp_ne_u32_e64 s[0:1], 0, v4
	v_cndmask_b32_e32 v2, v5, v2, vcc
	v_cndmask_b32_e64 v4, v11, v9, s[0:1]
	v_cmp_ne_u32_e32 vcc, 0, v2
	v_cndmask_b32_e64 v2, v10, v8, s[0:1]
	v_cndmask_b32_e32 v5, v7, v4, vcc
	v_cndmask_b32_e32 v4, v6, v2, vcc
                                        ; implicit-def: $vgpr2_vgpr3
.LBB11_7:
	s_andn2_saveexec_b64 s[0:1], s[2:3]
	s_cbranch_execz .LBB11_9
; %bb.8:
	v_cvt_f32_u32_e32 v3, s24
	s_sub_i32 s2, 0, s24
	v_rcp_iflag_f32_e32 v3, v3
	v_mul_f32_e32 v3, 0x4f7ffffe, v3
	v_cvt_u32_f32_e32 v3, v3
	v_mul_lo_u32 v4, s2, v3
	v_mul_hi_u32 v4, v3, v4
	v_add_u32_e32 v3, v3, v4
	v_mul_hi_u32 v3, v2, v3
	v_mul_lo_u32 v4, v3, s24
	v_add_u32_e32 v5, 1, v3
	v_sub_u32_e32 v2, v2, v4
	v_subrev_u32_e32 v4, s24, v2
	v_cmp_le_u32_e32 vcc, s24, v2
	v_cndmask_b32_e32 v2, v2, v4, vcc
	v_cndmask_b32_e32 v3, v3, v5, vcc
	v_add_u32_e32 v4, 1, v3
	v_cmp_le_u32_e32 vcc, s24, v2
	v_cndmask_b32_e32 v4, v3, v4, vcc
	v_mov_b32_e32 v5, 0
.LBB11_9:
	s_or_b64 exec, exec, s[0:1]
	v_or_b32_e32 v3, s21, v5
	v_mov_b32_e32 v2, 0
	v_cmp_ne_u64_e32 vcc, 0, v[2:3]
                                        ; implicit-def: $vgpr2_vgpr3
	s_and_saveexec_b64 s[0:1], vcc
	s_xor_b64 s[2:3], exec, s[0:1]
	s_cbranch_execz .LBB11_11
; %bb.10:
	v_cvt_f32_u32_e32 v2, s20
	v_cvt_f32_u32_e32 v3, s21
	s_sub_u32 s28, 0, s20
	s_subb_u32 s29, 0, s21
	v_madmk_f32 v2, v3, 0x4f800000, v2
	v_rcp_f32_e32 v2, v2
	v_mul_f32_e32 v2, 0x5f7ffffc, v2
	v_mul_f32_e32 v3, 0x2f800000, v2
	v_trunc_f32_e32 v3, v3
	v_madmk_f32 v2, v3, 0xcf800000, v2
	v_cvt_u32_f32_e32 v3, v3
	v_cvt_u32_f32_e32 v2, v2
	v_readfirstlane_b32 s30, v3
	v_readfirstlane_b32 s0, v2
	s_mul_i32 s1, s28, s30
	s_mul_hi_u32 s33, s28, s0
	s_mul_i32 s31, s29, s0
	s_add_i32 s1, s33, s1
	s_mul_i32 s34, s28, s0
	s_add_i32 s1, s1, s31
	s_mul_i32 s33, s0, s1
	s_mul_hi_u32 s35, s0, s34
	s_mul_hi_u32 s31, s0, s1
	s_add_u32 s33, s35, s33
	s_addc_u32 s31, 0, s31
	s_mul_hi_u32 s36, s30, s34
	s_mul_i32 s34, s30, s34
	s_add_u32 s33, s33, s34
	s_mul_hi_u32 s35, s30, s1
	s_addc_u32 s31, s31, s36
	s_addc_u32 s33, s35, 0
	s_mul_i32 s1, s30, s1
	s_add_u32 s1, s31, s1
	s_addc_u32 s31, 0, s33
	s_add_u32 s33, s0, s1
	s_cselect_b64 s[0:1], -1, 0
	s_cmp_lg_u64 s[0:1], 0
	s_addc_u32 s30, s30, s31
	s_mul_i32 s0, s28, s30
	s_mul_hi_u32 s1, s28, s33
	s_add_i32 s0, s1, s0
	s_mul_i32 s29, s29, s33
	s_add_i32 s0, s0, s29
	s_mul_i32 s28, s28, s33
	s_mul_hi_u32 s29, s30, s28
	s_mul_i32 s31, s30, s28
	s_mul_i32 s35, s33, s0
	s_mul_hi_u32 s28, s33, s28
	s_mul_hi_u32 s34, s33, s0
	s_add_u32 s28, s28, s35
	s_addc_u32 s34, 0, s34
	s_add_u32 s28, s28, s31
	s_mul_hi_u32 s1, s30, s0
	s_addc_u32 s28, s34, s29
	s_addc_u32 s1, s1, 0
	s_mul_i32 s0, s30, s0
	s_add_u32 s0, s28, s0
	s_addc_u32 s28, 0, s1
	s_add_u32 s29, s33, s0
	s_cselect_b64 s[0:1], -1, 0
	s_cmp_lg_u64 s[0:1], 0
	s_addc_u32 s28, s30, s28
	v_mad_u64_u32 v[2:3], s[0:1], v4, s28, 0
	v_mul_hi_u32 v6, v4, s29
	v_add_co_u32_e32 v8, vcc, v6, v2
	v_addc_co_u32_e32 v9, vcc, 0, v3, vcc
	v_mad_u64_u32 v[2:3], s[0:1], v5, s29, 0
	v_mad_u64_u32 v[6:7], s[0:1], v5, s28, 0
	v_add_co_u32_e32 v2, vcc, v8, v2
	v_addc_co_u32_e32 v2, vcc, v9, v3, vcc
	v_addc_co_u32_e32 v3, vcc, 0, v7, vcc
	v_add_co_u32_e32 v2, vcc, v2, v6
	v_addc_co_u32_e32 v3, vcc, 0, v3, vcc
	v_mul_lo_u32 v6, s21, v2
	v_mul_lo_u32 v7, s20, v3
	v_mad_u64_u32 v[2:3], s[0:1], s20, v2, 0
	v_add3_u32 v3, v3, v7, v6
	v_sub_u32_e32 v6, v5, v3
	v_mov_b32_e32 v7, s21
	v_sub_co_u32_e32 v2, vcc, v4, v2
	v_subb_co_u32_e64 v4, s[0:1], v6, v7, vcc
	v_subrev_co_u32_e64 v6, s[0:1], s20, v2
	v_subbrev_co_u32_e64 v4, s[0:1], 0, v4, s[0:1]
	v_cmp_le_u32_e64 s[0:1], s21, v4
	v_subb_co_u32_e32 v3, vcc, v5, v3, vcc
	v_cndmask_b32_e64 v7, 0, -1, s[0:1]
	v_cmp_le_u32_e64 s[0:1], s20, v6
	v_cmp_le_u32_e32 vcc, s21, v3
	v_cndmask_b32_e64 v8, 0, -1, s[0:1]
	v_cmp_eq_u32_e64 s[0:1], s21, v4
	v_cndmask_b32_e64 v5, 0, -1, vcc
	v_cmp_le_u32_e32 vcc, s20, v2
	v_cndmask_b32_e64 v4, v7, v8, s[0:1]
	v_cndmask_b32_e64 v8, 0, -1, vcc
	v_cmp_eq_u32_e32 vcc, s21, v3
	v_subrev_co_u32_e64 v7, s[0:1], s20, v6
	v_cndmask_b32_e32 v3, v5, v8, vcc
	v_cmp_ne_u32_e32 vcc, 0, v4
	v_cndmask_b32_e32 v4, v6, v7, vcc
	v_cmp_ne_u32_e32 vcc, 0, v3
	v_cndmask_b32_e32 v2, v2, v4, vcc
                                        ; implicit-def: $vgpr4_vgpr5
.LBB11_11:
	s_andn2_saveexec_b64 s[0:1], s[2:3]
	s_cbranch_execz .LBB11_13
; %bb.12:
	v_cvt_f32_u32_e32 v2, s20
	s_sub_i32 s2, 0, s20
	v_rcp_iflag_f32_e32 v2, v2
	v_mul_f32_e32 v2, 0x4f7ffffe, v2
	v_cvt_u32_f32_e32 v2, v2
	v_mul_lo_u32 v3, s2, v2
	v_mul_hi_u32 v3, v2, v3
	v_add_u32_e32 v2, v2, v3
	v_mul_hi_u32 v2, v4, v2
	v_mul_lo_u32 v2, v2, s20
	v_sub_u32_e32 v2, v4, v2
	v_subrev_u32_e32 v3, s20, v2
	v_cmp_le_u32_e32 vcc, s20, v2
	v_cndmask_b32_e32 v2, v2, v3, vcc
	v_subrev_u32_e32 v3, s20, v2
	v_cmp_le_u32_e32 vcc, s20, v2
	v_cndmask_b32_e32 v2, v2, v3, vcc
.LBB11_13:
	s_or_b64 exec, exec, s[0:1]
	v_or_b32_e32 v4, s25, v1
	v_mov_b32_e32 v3, 0
	v_cmp_ne_u64_e32 vcc, 0, v[3:4]
                                        ; implicit-def: $vgpr3_vgpr4
	s_and_saveexec_b64 s[0:1], vcc
	s_xor_b64 s[2:3], exec, s[0:1]
	s_cbranch_execz .LBB11_15
; %bb.14:
	v_cvt_f32_u32_e32 v3, s24
	v_cvt_f32_u32_e32 v4, s25
	s_sub_u32 s20, 0, s24
	s_subb_u32 s21, 0, s25
	v_madmk_f32 v3, v4, 0x4f800000, v3
	v_rcp_f32_e32 v3, v3
	v_mul_f32_e32 v3, 0x5f7ffffc, v3
	v_mul_f32_e32 v4, 0x2f800000, v3
	v_trunc_f32_e32 v4, v4
	v_madmk_f32 v3, v4, 0xcf800000, v3
	v_cvt_u32_f32_e32 v4, v4
	v_cvt_u32_f32_e32 v3, v3
	v_readfirstlane_b32 s28, v4
	v_readfirstlane_b32 s0, v3
	s_mul_i32 s1, s20, s28
	s_mul_hi_u32 s30, s20, s0
	s_mul_i32 s29, s21, s0
	s_add_i32 s1, s30, s1
	s_mul_i32 s31, s20, s0
	s_add_i32 s1, s1, s29
	s_mul_i32 s30, s0, s1
	s_mul_hi_u32 s33, s0, s31
	s_mul_hi_u32 s29, s0, s1
	s_add_u32 s30, s33, s30
	s_addc_u32 s29, 0, s29
	s_mul_hi_u32 s34, s28, s31
	s_mul_i32 s31, s28, s31
	s_add_u32 s30, s30, s31
	s_mul_hi_u32 s33, s28, s1
	s_addc_u32 s29, s29, s34
	s_addc_u32 s30, s33, 0
	s_mul_i32 s1, s28, s1
	s_add_u32 s1, s29, s1
	s_addc_u32 s29, 0, s30
	s_add_u32 s30, s0, s1
	s_cselect_b64 s[0:1], -1, 0
	s_cmp_lg_u64 s[0:1], 0
	s_addc_u32 s28, s28, s29
	s_mul_i32 s0, s20, s28
	s_mul_hi_u32 s1, s20, s30
	s_add_i32 s0, s1, s0
	s_mul_i32 s21, s21, s30
	s_add_i32 s0, s0, s21
	s_mul_i32 s20, s20, s30
	s_mul_hi_u32 s21, s28, s20
	s_mul_i32 s29, s28, s20
	s_mul_i32 s33, s30, s0
	s_mul_hi_u32 s20, s30, s20
	s_mul_hi_u32 s31, s30, s0
	s_add_u32 s20, s20, s33
	s_addc_u32 s31, 0, s31
	s_add_u32 s20, s20, s29
	s_mul_hi_u32 s1, s28, s0
	s_addc_u32 s20, s31, s21
	s_addc_u32 s1, s1, 0
	s_mul_i32 s0, s28, s0
	s_add_u32 s0, s20, s0
	s_addc_u32 s20, 0, s1
	s_add_u32 s21, s30, s0
	s_cselect_b64 s[0:1], -1, 0
	s_cmp_lg_u64 s[0:1], 0
	s_addc_u32 s20, s28, s20
	v_mad_u64_u32 v[3:4], s[0:1], v0, s20, 0
	v_mul_hi_u32 v5, v0, s21
	v_add_co_u32_e32 v7, vcc, v5, v3
	v_addc_co_u32_e32 v8, vcc, 0, v4, vcc
	v_mad_u64_u32 v[3:4], s[0:1], v1, s21, 0
	v_mad_u64_u32 v[5:6], s[0:1], v1, s20, 0
	v_add_co_u32_e32 v3, vcc, v7, v3
	v_addc_co_u32_e32 v3, vcc, v8, v4, vcc
	v_addc_co_u32_e32 v4, vcc, 0, v6, vcc
	v_add_co_u32_e32 v5, vcc, v3, v5
	v_addc_co_u32_e32 v6, vcc, 0, v4, vcc
	v_mul_lo_u32 v7, s25, v5
	v_mul_lo_u32 v8, s24, v6
	v_mad_u64_u32 v[3:4], s[0:1], s24, v5, 0
	v_add3_u32 v4, v4, v8, v7
	v_sub_u32_e32 v7, v1, v4
	v_mov_b32_e32 v8, s25
	v_sub_co_u32_e32 v3, vcc, v0, v3
	v_subb_co_u32_e64 v7, s[0:1], v7, v8, vcc
	v_subrev_co_u32_e64 v8, s[0:1], s24, v3
	v_subbrev_co_u32_e64 v7, s[0:1], 0, v7, s[0:1]
	v_cmp_le_u32_e64 s[0:1], s25, v7
	v_cndmask_b32_e64 v9, 0, -1, s[0:1]
	v_cmp_le_u32_e64 s[0:1], s24, v8
	v_cndmask_b32_e64 v8, 0, -1, s[0:1]
	v_cmp_eq_u32_e64 s[0:1], s25, v7
	v_cndmask_b32_e64 v7, v9, v8, s[0:1]
	v_add_co_u32_e64 v8, s[0:1], 2, v5
	v_addc_co_u32_e64 v9, s[0:1], 0, v6, s[0:1]
	v_add_co_u32_e64 v10, s[0:1], 1, v5
	v_addc_co_u32_e64 v11, s[0:1], 0, v6, s[0:1]
	v_subb_co_u32_e32 v4, vcc, v1, v4, vcc
	v_cmp_ne_u32_e64 s[0:1], 0, v7
	v_cmp_le_u32_e32 vcc, s25, v4
	v_cndmask_b32_e64 v7, v11, v9, s[0:1]
	v_cndmask_b32_e64 v9, 0, -1, vcc
	v_cmp_le_u32_e32 vcc, s24, v3
	v_cndmask_b32_e64 v3, 0, -1, vcc
	v_cmp_eq_u32_e32 vcc, s25, v4
	v_cndmask_b32_e32 v3, v9, v3, vcc
	v_cmp_ne_u32_e32 vcc, 0, v3
	v_cndmask_b32_e64 v3, v10, v8, s[0:1]
	v_cndmask_b32_e32 v4, v6, v7, vcc
	v_cndmask_b32_e32 v3, v5, v3, vcc
.LBB11_15:
	s_andn2_saveexec_b64 s[0:1], s[2:3]
	s_cbranch_execz .LBB11_17
; %bb.16:
	v_cvt_f32_u32_e32 v3, s24
	s_sub_i32 s2, 0, s24
	v_rcp_iflag_f32_e32 v3, v3
	v_mul_f32_e32 v3, 0x4f7ffffe, v3
	v_cvt_u32_f32_e32 v3, v3
	v_mul_lo_u32 v4, s2, v3
	v_mul_hi_u32 v4, v3, v4
	v_add_u32_e32 v3, v3, v4
	v_mul_hi_u32 v3, v0, v3
	v_mul_lo_u32 v4, v3, s24
	v_add_u32_e32 v5, 1, v3
	v_sub_u32_e32 v4, v0, v4
	v_subrev_u32_e32 v6, s24, v4
	v_cmp_le_u32_e32 vcc, s24, v4
	v_cndmask_b32_e32 v4, v4, v6, vcc
	v_cndmask_b32_e32 v3, v3, v5, vcc
	v_add_u32_e32 v5, 1, v3
	v_cmp_le_u32_e32 vcc, s24, v4
	v_cndmask_b32_e32 v3, v3, v5, vcc
	v_mov_b32_e32 v4, 0
.LBB11_17:
	s_or_b64 exec, exec, s[0:1]
	v_or_b32_e32 v6, s23, v4
	v_mov_b32_e32 v5, 0
	v_cmp_ne_u64_e32 vcc, 0, v[5:6]
                                        ; implicit-def: $vgpr5_vgpr6
	s_and_saveexec_b64 s[0:1], vcc
	s_xor_b64 s[2:3], exec, s[0:1]
	s_cbranch_execnz .LBB11_20
; %bb.18:
	s_andn2_saveexec_b64 s[0:1], s[2:3]
	s_cbranch_execnz .LBB11_21
.LBB11_19:
	s_or_b64 exec, exec, s[0:1]
	s_cmp_eq_u64 s[10:11], 0
	s_cbranch_scc0 .LBB11_22
	s_branch .LBB11_44
.LBB11_20:
	v_cvt_f32_u32_e32 v5, s22
	v_cvt_f32_u32_e32 v6, s23
	s_sub_u32 s20, 0, s22
	s_subb_u32 s21, 0, s23
	v_madmk_f32 v5, v6, 0x4f800000, v5
	v_rcp_f32_e32 v5, v5
	v_mul_f32_e32 v5, 0x5f7ffffc, v5
	v_mul_f32_e32 v6, 0x2f800000, v5
	v_trunc_f32_e32 v6, v6
	v_madmk_f32 v5, v6, 0xcf800000, v5
	v_cvt_u32_f32_e32 v6, v6
	v_cvt_u32_f32_e32 v5, v5
	v_readfirstlane_b32 s28, v6
	v_readfirstlane_b32 s0, v5
	s_mul_i32 s1, s20, s28
	s_mul_hi_u32 s30, s20, s0
	s_mul_i32 s29, s21, s0
	s_add_i32 s1, s30, s1
	s_mul_i32 s31, s20, s0
	s_add_i32 s1, s1, s29
	s_mul_i32 s30, s0, s1
	s_mul_hi_u32 s33, s0, s31
	s_mul_hi_u32 s29, s0, s1
	s_add_u32 s30, s33, s30
	s_addc_u32 s29, 0, s29
	s_mul_hi_u32 s34, s28, s31
	s_mul_i32 s31, s28, s31
	s_add_u32 s30, s30, s31
	s_mul_hi_u32 s33, s28, s1
	s_addc_u32 s29, s29, s34
	s_addc_u32 s30, s33, 0
	s_mul_i32 s1, s28, s1
	s_add_u32 s1, s29, s1
	s_addc_u32 s29, 0, s30
	s_add_u32 s30, s0, s1
	s_cselect_b64 s[0:1], -1, 0
	s_cmp_lg_u64 s[0:1], 0
	s_addc_u32 s28, s28, s29
	s_mul_i32 s0, s20, s28
	s_mul_hi_u32 s1, s20, s30
	s_add_i32 s0, s1, s0
	s_mul_i32 s21, s21, s30
	s_add_i32 s0, s0, s21
	s_mul_i32 s20, s20, s30
	s_mul_hi_u32 s21, s28, s20
	s_mul_i32 s29, s28, s20
	s_mul_i32 s33, s30, s0
	s_mul_hi_u32 s20, s30, s20
	s_mul_hi_u32 s31, s30, s0
	s_add_u32 s20, s20, s33
	s_addc_u32 s31, 0, s31
	s_add_u32 s20, s20, s29
	s_mul_hi_u32 s1, s28, s0
	s_addc_u32 s20, s31, s21
	s_addc_u32 s1, s1, 0
	s_mul_i32 s0, s28, s0
	s_add_u32 s0, s20, s0
	s_addc_u32 s20, 0, s1
	s_add_u32 s21, s30, s0
	s_cselect_b64 s[0:1], -1, 0
	s_cmp_lg_u64 s[0:1], 0
	s_addc_u32 s20, s28, s20
	v_mad_u64_u32 v[5:6], s[0:1], v3, s20, 0
	v_mul_hi_u32 v7, v3, s21
	v_add_co_u32_e32 v9, vcc, v7, v5
	v_addc_co_u32_e32 v10, vcc, 0, v6, vcc
	v_mad_u64_u32 v[5:6], s[0:1], v4, s21, 0
	v_mad_u64_u32 v[7:8], s[0:1], v4, s20, 0
	v_add_co_u32_e32 v5, vcc, v9, v5
	v_addc_co_u32_e32 v5, vcc, v10, v6, vcc
	v_addc_co_u32_e32 v6, vcc, 0, v8, vcc
	v_add_co_u32_e32 v5, vcc, v5, v7
	v_addc_co_u32_e32 v6, vcc, 0, v6, vcc
	v_mul_lo_u32 v7, s23, v5
	v_mul_lo_u32 v8, s22, v6
	v_mad_u64_u32 v[5:6], s[0:1], s22, v5, 0
	v_add3_u32 v6, v6, v8, v7
	v_sub_u32_e32 v7, v4, v6
	v_mov_b32_e32 v8, s23
	v_sub_co_u32_e32 v5, vcc, v3, v5
	v_subb_co_u32_e64 v7, s[0:1], v7, v8, vcc
	v_subrev_co_u32_e64 v8, s[0:1], s22, v5
	v_subbrev_co_u32_e64 v7, s[0:1], 0, v7, s[0:1]
	v_cmp_le_u32_e64 s[0:1], s23, v7
	v_subb_co_u32_e32 v4, vcc, v4, v6, vcc
	v_cndmask_b32_e64 v9, 0, -1, s[0:1]
	v_cmp_le_u32_e64 s[0:1], s22, v8
	v_cmp_le_u32_e32 vcc, s23, v4
	v_cndmask_b32_e64 v10, 0, -1, s[0:1]
	v_cmp_eq_u32_e64 s[0:1], s23, v7
	v_cndmask_b32_e64 v6, 0, -1, vcc
	v_cmp_le_u32_e32 vcc, s22, v5
	v_cndmask_b32_e64 v7, v9, v10, s[0:1]
	v_cndmask_b32_e64 v10, 0, -1, vcc
	v_cmp_eq_u32_e32 vcc, s23, v4
	v_subrev_co_u32_e64 v9, s[0:1], s22, v8
	v_cndmask_b32_e32 v4, v6, v10, vcc
	v_cmp_ne_u32_e32 vcc, 0, v7
	v_cndmask_b32_e32 v6, v8, v9, vcc
	v_cmp_ne_u32_e32 vcc, 0, v4
	v_cndmask_b32_e32 v5, v5, v6, vcc
	s_andn2_saveexec_b64 s[0:1], s[2:3]
	s_cbranch_execz .LBB11_19
.LBB11_21:
	v_cvt_f32_u32_e32 v4, s22
	s_sub_i32 s2, 0, s22
	v_rcp_iflag_f32_e32 v4, v4
	v_mul_f32_e32 v4, 0x4f7ffffe, v4
	v_cvt_u32_f32_e32 v4, v4
	v_mul_lo_u32 v5, s2, v4
	v_mul_hi_u32 v5, v4, v5
	v_add_u32_e32 v4, v4, v5
	v_mul_hi_u32 v4, v3, v4
	v_mul_lo_u32 v4, v4, s22
	v_sub_u32_e32 v4, v3, v4
	v_subrev_u32_e32 v5, s22, v4
	v_cmp_le_u32_e32 vcc, s22, v4
	v_cndmask_b32_e32 v4, v4, v5, vcc
	v_subrev_u32_e32 v5, s22, v4
	v_cmp_le_u32_e32 vcc, s22, v4
	v_cndmask_b32_e32 v5, v4, v5, vcc
	s_or_b64 exec, exec, s[0:1]
	s_cmp_eq_u64 s[10:11], 0
	s_cbranch_scc1 .LBB11_44
.LBB11_22:
	s_mul_i32 s0, s6, s25
	s_mul_hi_u32 s1, s6, s24
	s_add_i32 s0, s1, s0
	s_mul_i32 s7, s7, s24
	s_add_i32 s22, s0, s7
	v_or_b32_e32 v7, s22, v1
	v_mov_b32_e32 v6, 0
	v_cmp_ne_u64_e32 vcc, 0, v[6:7]
	s_mul_i32 s23, s6, s24
                                        ; implicit-def: $vgpr8_vgpr9
	s_and_saveexec_b64 s[0:1], vcc
	s_xor_b64 s[2:3], exec, s[0:1]
	s_cbranch_execz .LBB11_24
; %bb.23:
	s_ashr_i32 s6, s22, 31
	s_add_u32 s0, s23, s6
	s_mov_b32 s7, s6
	s_addc_u32 s1, s22, s6
	s_xor_b64 s[20:21], s[0:1], s[6:7]
	v_cvt_f32_u32_e32 v4, s20
	v_cvt_f32_u32_e32 v6, s21
	s_sub_u32 s7, 0, s20
	s_subb_u32 s25, 0, s21
	v_madmk_f32 v4, v6, 0x4f800000, v4
	v_rcp_f32_e32 v4, v4
	v_mul_f32_e32 v4, 0x5f7ffffc, v4
	v_mul_f32_e32 v6, 0x2f800000, v4
	v_trunc_f32_e32 v6, v6
	v_madmk_f32 v4, v6, 0xcf800000, v4
	v_cvt_u32_f32_e32 v6, v6
	v_cvt_u32_f32_e32 v4, v4
	v_readfirstlane_b32 s28, v6
	v_readfirstlane_b32 s0, v4
	s_mul_i32 s1, s7, s28
	s_mul_hi_u32 s30, s7, s0
	s_mul_i32 s29, s25, s0
	s_add_i32 s1, s30, s1
	s_add_i32 s1, s1, s29
	s_mul_i32 s31, s7, s0
	s_mul_i32 s30, s0, s1
	s_mul_hi_u32 s33, s0, s31
	s_mul_hi_u32 s29, s0, s1
	s_add_u32 s30, s33, s30
	s_addc_u32 s29, 0, s29
	s_mul_hi_u32 s34, s28, s31
	s_mul_i32 s31, s28, s31
	s_add_u32 s30, s30, s31
	s_mul_hi_u32 s33, s28, s1
	s_addc_u32 s29, s29, s34
	s_addc_u32 s30, s33, 0
	s_mul_i32 s1, s28, s1
	s_add_u32 s1, s29, s1
	s_addc_u32 s29, 0, s30
	s_add_u32 s30, s0, s1
	s_cselect_b64 s[0:1], -1, 0
	s_cmp_lg_u64 s[0:1], 0
	s_addc_u32 s28, s28, s29
	s_mul_i32 s0, s7, s28
	s_mul_hi_u32 s1, s7, s30
	s_add_i32 s0, s1, s0
	s_mul_i32 s25, s25, s30
	s_add_i32 s0, s0, s25
	s_mul_i32 s7, s7, s30
	s_mul_hi_u32 s25, s28, s7
	s_mul_i32 s29, s28, s7
	s_mul_i32 s33, s30, s0
	s_mul_hi_u32 s7, s30, s7
	s_mul_hi_u32 s31, s30, s0
	s_add_u32 s7, s7, s33
	s_addc_u32 s31, 0, s31
	s_add_u32 s7, s7, s29
	s_mul_hi_u32 s1, s28, s0
	s_addc_u32 s7, s31, s25
	s_addc_u32 s1, s1, 0
	s_mul_i32 s0, s28, s0
	s_add_u32 s0, s7, s0
	s_addc_u32 s7, 0, s1
	s_add_u32 s25, s30, s0
	s_cselect_b64 s[0:1], -1, 0
	v_ashrrev_i32_e32 v4, 31, v1
	s_cmp_lg_u64 s[0:1], 0
	v_add_co_u32_e32 v6, vcc, v0, v4
	s_addc_u32 s7, s28, s7
	v_xor_b32_e32 v10, v6, v4
	v_mad_u64_u32 v[6:7], s[0:1], v10, s7, 0
	v_mul_hi_u32 v9, v10, s25
	v_addc_co_u32_e32 v8, vcc, v1, v4, vcc
	v_xor_b32_e32 v11, v8, v4
	v_add_co_u32_e32 v12, vcc, v9, v6
	v_addc_co_u32_e32 v13, vcc, 0, v7, vcc
	v_mad_u64_u32 v[6:7], s[0:1], v11, s25, 0
	v_mad_u64_u32 v[8:9], s[0:1], v11, s7, 0
	v_add_co_u32_e32 v6, vcc, v12, v6
	v_addc_co_u32_e32 v6, vcc, v13, v7, vcc
	v_addc_co_u32_e32 v7, vcc, 0, v9, vcc
	v_add_co_u32_e32 v8, vcc, v6, v8
	v_addc_co_u32_e32 v9, vcc, 0, v7, vcc
	v_mul_lo_u32 v12, s21, v8
	v_mul_lo_u32 v13, s20, v9
	v_mad_u64_u32 v[6:7], s[0:1], s20, v8, 0
	v_xor_b32_e32 v4, s6, v4
	v_add3_u32 v7, v7, v13, v12
	v_sub_u32_e32 v12, v11, v7
	v_mov_b32_e32 v13, s21
	v_sub_co_u32_e32 v6, vcc, v10, v6
	v_subb_co_u32_e64 v10, s[0:1], v12, v13, vcc
	v_subrev_co_u32_e64 v12, s[0:1], s20, v6
	v_subbrev_co_u32_e64 v10, s[0:1], 0, v10, s[0:1]
	v_cmp_le_u32_e64 s[0:1], s21, v10
	v_cndmask_b32_e64 v13, 0, -1, s[0:1]
	v_cmp_le_u32_e64 s[0:1], s20, v12
	v_cndmask_b32_e64 v12, 0, -1, s[0:1]
	v_cmp_eq_u32_e64 s[0:1], s21, v10
	v_cndmask_b32_e64 v10, v13, v12, s[0:1]
	v_add_co_u32_e64 v12, s[0:1], 2, v8
	v_subb_co_u32_e32 v7, vcc, v11, v7, vcc
	v_addc_co_u32_e64 v13, s[0:1], 0, v9, s[0:1]
	v_cmp_le_u32_e32 vcc, s21, v7
	v_add_co_u32_e64 v14, s[0:1], 1, v8
	v_cndmask_b32_e64 v11, 0, -1, vcc
	v_cmp_le_u32_e32 vcc, s20, v6
	v_addc_co_u32_e64 v15, s[0:1], 0, v9, s[0:1]
	v_cndmask_b32_e64 v6, 0, -1, vcc
	v_cmp_eq_u32_e32 vcc, s21, v7
	v_cmp_ne_u32_e64 s[0:1], 0, v10
	v_cndmask_b32_e32 v6, v11, v6, vcc
	v_cmp_ne_u32_e32 vcc, 0, v6
	v_cndmask_b32_e64 v7, v14, v12, s[0:1]
	v_cndmask_b32_e64 v10, v15, v13, s[0:1]
	v_cndmask_b32_e32 v7, v8, v7, vcc
	v_cndmask_b32_e32 v6, v9, v10, vcc
	v_xor_b32_e32 v7, v7, v4
	v_xor_b32_e32 v6, v6, v4
	v_sub_co_u32_e32 v8, vcc, v7, v4
	v_subb_co_u32_e32 v9, vcc, v6, v4, vcc
.LBB11_24:
	s_andn2_saveexec_b64 s[0:1], s[2:3]
	s_cbranch_execz .LBB11_26
; %bb.25:
	v_cvt_f32_u32_e32 v4, s23
	s_sub_i32 s2, 0, s23
	v_mov_b32_e32 v9, 0
	v_rcp_iflag_f32_e32 v4, v4
	v_mul_f32_e32 v4, 0x4f7ffffe, v4
	v_cvt_u32_f32_e32 v4, v4
	v_mul_lo_u32 v6, s2, v4
	v_mul_hi_u32 v6, v4, v6
	v_add_u32_e32 v4, v4, v6
	v_mul_hi_u32 v4, v0, v4
	v_mul_lo_u32 v6, v4, s23
	v_add_u32_e32 v7, 1, v4
	v_sub_u32_e32 v6, v0, v6
	v_subrev_u32_e32 v8, s23, v6
	v_cmp_le_u32_e32 vcc, s23, v6
	v_cndmask_b32_e32 v6, v6, v8, vcc
	v_cndmask_b32_e32 v4, v4, v7, vcc
	v_add_u32_e32 v7, 1, v4
	v_cmp_le_u32_e32 vcc, s23, v6
	v_cndmask_b32_e32 v8, v4, v7, vcc
.LBB11_26:
	s_or_b64 exec, exec, s[0:1]
	v_or_b32_e32 v7, s13, v9
	v_mov_b32_e32 v6, 0
	v_cmp_ne_u64_e32 vcc, 0, v[6:7]
                                        ; implicit-def: $vgpr6_vgpr7
	s_and_saveexec_b64 s[0:1], vcc
	s_xor_b64 s[2:3], exec, s[0:1]
	s_cbranch_execz .LBB11_28
; %bb.27:
	v_cvt_f32_u32_e32 v4, s12
	v_cvt_f32_u32_e32 v6, s13
	s_sub_u32 s6, 0, s12
	s_subb_u32 s7, 0, s13
	v_madmk_f32 v4, v6, 0x4f800000, v4
	v_rcp_f32_e32 v4, v4
	v_mul_f32_e32 v4, 0x5f7ffffc, v4
	v_mul_f32_e32 v6, 0x2f800000, v4
	v_trunc_f32_e32 v6, v6
	v_madmk_f32 v4, v6, 0xcf800000, v4
	v_cvt_u32_f32_e32 v6, v6
	v_cvt_u32_f32_e32 v4, v4
	v_readfirstlane_b32 s20, v6
	v_readfirstlane_b32 s0, v4
	s_mul_i32 s1, s6, s20
	s_mul_hi_u32 s25, s6, s0
	s_mul_i32 s21, s7, s0
	s_add_i32 s1, s25, s1
	s_mul_i32 s28, s6, s0
	s_add_i32 s1, s1, s21
	s_mul_i32 s25, s0, s1
	s_mul_hi_u32 s29, s0, s28
	s_mul_hi_u32 s21, s0, s1
	s_add_u32 s25, s29, s25
	s_addc_u32 s21, 0, s21
	s_mul_hi_u32 s30, s20, s28
	s_mul_i32 s28, s20, s28
	s_add_u32 s25, s25, s28
	s_mul_hi_u32 s29, s20, s1
	s_addc_u32 s21, s21, s30
	s_addc_u32 s25, s29, 0
	s_mul_i32 s1, s20, s1
	s_add_u32 s1, s21, s1
	s_addc_u32 s21, 0, s25
	s_add_u32 s25, s0, s1
	s_cselect_b64 s[0:1], -1, 0
	s_cmp_lg_u64 s[0:1], 0
	s_addc_u32 s20, s20, s21
	s_mul_i32 s0, s6, s20
	s_mul_hi_u32 s1, s6, s25
	s_add_i32 s0, s1, s0
	s_mul_i32 s7, s7, s25
	s_add_i32 s0, s0, s7
	s_mul_i32 s6, s6, s25
	s_mul_hi_u32 s7, s20, s6
	s_mul_i32 s21, s20, s6
	s_mul_i32 s29, s25, s0
	s_mul_hi_u32 s6, s25, s6
	s_mul_hi_u32 s28, s25, s0
	s_add_u32 s6, s6, s29
	s_addc_u32 s28, 0, s28
	s_add_u32 s6, s6, s21
	s_mul_hi_u32 s1, s20, s0
	s_addc_u32 s6, s28, s7
	s_addc_u32 s1, s1, 0
	s_mul_i32 s0, s20, s0
	s_add_u32 s0, s6, s0
	s_addc_u32 s6, 0, s1
	s_add_u32 s7, s25, s0
	s_cselect_b64 s[0:1], -1, 0
	s_cmp_lg_u64 s[0:1], 0
	s_addc_u32 s6, s20, s6
	v_mad_u64_u32 v[6:7], s[0:1], v8, s6, 0
	v_mul_hi_u32 v4, v8, s7
	v_mad_u64_u32 v[10:11], s[0:1], v9, s6, 0
	v_add_co_u32_e32 v4, vcc, v4, v6
	v_addc_co_u32_e32 v12, vcc, 0, v7, vcc
	v_mad_u64_u32 v[6:7], s[0:1], v9, s7, 0
	v_add_co_u32_e32 v4, vcc, v4, v6
	v_addc_co_u32_e32 v4, vcc, v12, v7, vcc
	v_addc_co_u32_e32 v6, vcc, 0, v11, vcc
	v_add_co_u32_e32 v4, vcc, v4, v10
	v_addc_co_u32_e32 v6, vcc, 0, v6, vcc
	v_mul_lo_u32 v10, s13, v4
	v_mul_lo_u32 v11, s12, v6
	v_mad_u64_u32 v[6:7], s[0:1], s12, v4, 0
	v_add3_u32 v4, v7, v11, v10
	v_sub_u32_e32 v7, v9, v4
	v_mov_b32_e32 v10, s13
	v_sub_co_u32_e32 v6, vcc, v8, v6
	v_subb_co_u32_e64 v7, s[0:1], v7, v10, vcc
	v_subrev_co_u32_e64 v8, s[0:1], s12, v6
	v_subbrev_co_u32_e64 v7, s[0:1], 0, v7, s[0:1]
	v_cmp_le_u32_e64 s[0:1], s13, v7
	v_subb_co_u32_e32 v4, vcc, v9, v4, vcc
	v_cndmask_b32_e64 v10, 0, -1, s[0:1]
	v_cmp_le_u32_e64 s[0:1], s12, v8
	v_cmp_le_u32_e32 vcc, s13, v4
	v_cndmask_b32_e64 v11, 0, -1, s[0:1]
	v_cmp_eq_u32_e64 s[0:1], s13, v7
	v_cndmask_b32_e64 v9, 0, -1, vcc
	v_cmp_le_u32_e32 vcc, s12, v6
	v_cndmask_b32_e64 v7, v10, v11, s[0:1]
	v_cndmask_b32_e64 v11, 0, -1, vcc
	v_cmp_eq_u32_e32 vcc, s13, v4
	v_subrev_co_u32_e64 v10, s[0:1], s12, v8
	v_cndmask_b32_e32 v4, v9, v11, vcc
	v_cmp_ne_u32_e32 vcc, 0, v7
	v_cndmask_b32_e32 v7, v8, v10, vcc
	v_cmp_ne_u32_e32 vcc, 0, v4
	v_cndmask_b32_e32 v6, v6, v7, vcc
                                        ; implicit-def: $vgpr8_vgpr9
.LBB11_28:
	s_andn2_saveexec_b64 s[0:1], s[2:3]
	s_cbranch_execz .LBB11_30
; %bb.29:
	v_cvt_f32_u32_e32 v4, s12
	s_sub_i32 s2, 0, s12
	v_rcp_iflag_f32_e32 v4, v4
	v_mul_f32_e32 v4, 0x4f7ffffe, v4
	v_cvt_u32_f32_e32 v4, v4
	v_mul_lo_u32 v6, s2, v4
	v_mul_hi_u32 v6, v4, v6
	v_add_u32_e32 v4, v4, v6
	v_mul_hi_u32 v4, v8, v4
	v_mul_lo_u32 v4, v4, s12
	v_sub_u32_e32 v4, v8, v4
	v_subrev_u32_e32 v6, s12, v4
	v_cmp_le_u32_e32 vcc, s12, v4
	v_cndmask_b32_e32 v4, v4, v6, vcc
	v_subrev_u32_e32 v6, s12, v4
	v_cmp_le_u32_e32 vcc, s12, v4
	v_cndmask_b32_e32 v6, v4, v6, vcc
.LBB11_30:
	s_or_b64 exec, exec, s[0:1]
	v_mul_lo_u32 v3, v3, s24
	s_mul_i32 s0, s18, s17
	s_mul_hi_u32 s1, s18, s16
	s_add_i32 s0, s1, s0
	s_mul_i32 s1, s19, s16
	s_add_i32 s30, s0, s1
	s_load_dwordx4 s[0:3], s[4:5], 0x50
	v_sub_u32_e32 v3, v0, v3
	v_cvt_f32_i32_e32 v8, v3
	v_cvt_f32_i32_e32 v4, v5
	v_add_u32_e32 v5, 1, v5
	v_add_u32_e32 v3, 1, v3
	s_waitcnt lgkmcnt(0)
	v_mul_f32_e32 v8, s2, v8
	v_ceil_f32_e32 v8, v8
	v_cvt_i32_f32_e32 v12, v8
	v_cvt_f32_i32_e32 v8, v2
	v_add_u32_e32 v2, 1, v2
	v_cvt_f32_i32_e32 v5, v5
	v_cvt_f32_i32_e32 v3, v3
	;; [unrolled: 1-line block ×3, first 2 shown]
	v_mul_f32_e32 v4, s1, v4
	v_ceil_f32_e32 v4, v4
	v_cvt_i32_f32_e32 v7, v4
	v_mul_f32_e32 v4, s1, v5
	v_mul_f32_e32 v3, s2, v3
	;; [unrolled: 1-line block ×3, first 2 shown]
	v_ceil_f32_e32 v4, v4
	v_ceil_f32_e32 v3, v3
	v_mul_f32_e32 v8, s0, v8
	v_ceil_f32_e32 v2, v2
	v_cvt_i32_f32_e32 v5, v4
	v_cvt_i32_f32_e32 v3, v3
	v_ceil_f32_e32 v8, v8
	v_cvt_i32_f32_e32 v2, v2
	v_cvt_i32_f32_e32 v13, v8
	s_mul_i32 s31, s18, s16
	s_mul_i32 s0, s31, s15
	s_mul_hi_u32 s1, s31, s14
	s_mul_i32 s6, s23, s13
	s_mul_hi_u32 s7, s23, s12
	v_min_i32_e32 v5, s16, v5
	v_min_i32_e32 v9, s18, v3
	;; [unrolled: 1-line block ×3, first 2 shown]
	s_add_i32 s0, s1, s0
	s_mul_i32 s1, s30, s14
	s_add_i32 s6, s7, s6
	s_mul_i32 s7, s22, s12
	v_min_i32_e32 v4, s16, v7
	v_min_i32_e32 v8, s18, v12
	;; [unrolled: 1-line block ×3, first 2 shown]
	s_add_i32 s33, s0, s1
	s_mul_i32 s34, s31, s14
	v_cmp_gt_i32_e64 s[0:1], v11, v13
	v_cmp_gt_i32_e64 s[2:3], v5, v7
	;; [unrolled: 1-line block ×3, first 2 shown]
	v_ashrrev_i32_e32 v7, 31, v6
	s_add_i32 s35, s6, s7
	s_mul_i32 s36, s23, s12
	s_mov_b64 s[14:15], 0
	s_branch .LBB11_33
.LBB11_31:                              ;   in Loop: Header=BB11_33 Depth=1
	s_or_b64 exec, exec, s[16:17]
.LBB11_32:                              ;   in Loop: Header=BB11_33 Depth=1
	s_or_b64 exec, exec, s[6:7]
	v_lshlrev_b64 v[2:3], 2, v[0:1]
	v_mov_b32_e32 v13, s27
	v_add_co_u32_e32 v2, vcc, s26, v2
	v_addc_co_u32_e32 v3, vcc, v13, v3, vcc
	s_add_u32 s14, s14, 1
	global_store_dword v[2:3], v12, off
	s_addc_u32 s15, s15, 0
	v_mov_b32_e32 v2, s14
	v_mov_b32_e32 v3, s15
	v_cmp_le_u64_e32 vcc, s[10:11], v[2:3]
	v_mov_b32_e32 v12, s35
	v_add_co_u32_e64 v0, s[6:7], s36, v0
	v_addc_co_u32_e64 v1, s[6:7], v1, v12, s[6:7]
	s_cbranch_vccnz .LBB11_44
.LBB11_33:                              ; =>This Loop Header: Depth=1
                                        ;     Child Loop BB11_37 Depth 2
                                        ;       Child Loop BB11_40 Depth 3
                                        ;         Child Loop BB11_42 Depth 4
	v_mov_b32_e32 v12, 0
	s_and_saveexec_b64 s[6:7], s[0:1]
	s_cbranch_execz .LBB11_32
; %bb.34:                               ;   in Loop: Header=BB11_33 Depth=1
	v_mov_b32_e32 v2, s12
	v_mad_u64_u32 v[2:3], s[16:17], s14, v2, v[6:7]
	s_mul_i32 s16, s15, s12
	s_mul_i32 s17, s14, s13
	s_add_i32 s17, s17, s16
	v_add_u32_e32 v3, s17, v3
	v_mul_lo_u32 v12, s34, v3
	v_mul_lo_u32 v13, s33, v2
	v_mad_u64_u32 v[2:3], s[16:17], s34, v2, 0
	s_mov_b64 s[16:17], 0
	v_mov_b32_e32 v15, v10
	v_add3_u32 v3, v3, v12, v13
	v_lshlrev_b64 v[2:3], 2, v[2:3]
	v_mov_b32_e32 v12, s9
	v_add_co_u32_e32 v13, vcc, s8, v2
	v_addc_co_u32_e32 v14, vcc, v12, v3, vcc
	v_mov_b32_e32 v12, 0
	s_branch .LBB11_37
.LBB11_35:                              ;   in Loop: Header=BB11_37 Depth=2
	s_or_b64 exec, exec, s[22:23]
.LBB11_36:                              ;   in Loop: Header=BB11_37 Depth=2
	s_or_b64 exec, exec, s[20:21]
	v_add_u32_e32 v15, 1, v15
	v_cmp_ge_i32_e32 vcc, v15, v11
	s_or_b64 s[16:17], vcc, s[16:17]
	s_andn2_b64 exec, exec, s[16:17]
	s_cbranch_execz .LBB11_31
.LBB11_37:                              ;   Parent Loop BB11_33 Depth=1
                                        ; =>  This Loop Header: Depth=2
                                        ;       Child Loop BB11_40 Depth 3
                                        ;         Child Loop BB11_42 Depth 4
	s_and_saveexec_b64 s[20:21], s[2:3]
	s_cbranch_execz .LBB11_36
; %bb.38:                               ;   in Loop: Header=BB11_37 Depth=2
	v_ashrrev_i32_e32 v16, 31, v15
	v_mul_lo_u32 v17, s30, v15
	v_mad_u64_u32 v[2:3], s[22:23], s31, v15, 0
	v_mul_lo_u32 v16, s31, v16
	s_mov_b64 s[22:23], 0
	v_mov_b32_e32 v18, v4
	v_add3_u32 v3, v3, v16, v17
	v_lshlrev_b64 v[2:3], 2, v[2:3]
	v_add_co_u32_e32 v16, vcc, v13, v2
	v_addc_co_u32_e32 v17, vcc, v14, v3, vcc
	s_branch .LBB11_40
.LBB11_39:                              ;   in Loop: Header=BB11_40 Depth=3
	s_or_b64 exec, exec, s[24:25]
	v_add_u32_e32 v18, 1, v18
	v_cmp_ge_i32_e32 vcc, v18, v5
	s_or_b64 s[22:23], vcc, s[22:23]
	s_andn2_b64 exec, exec, s[22:23]
	s_cbranch_execz .LBB11_35
.LBB11_40:                              ;   Parent Loop BB11_33 Depth=1
                                        ;     Parent Loop BB11_37 Depth=2
                                        ; =>    This Loop Header: Depth=3
                                        ;         Child Loop BB11_42 Depth 4
	s_and_saveexec_b64 s[24:25], s[4:5]
	s_cbranch_execz .LBB11_39
; %bb.41:                               ;   in Loop: Header=BB11_40 Depth=3
	v_ashrrev_i32_e32 v19, 31, v18
	v_mul_lo_u32 v20, s19, v18
	v_mad_u64_u32 v[2:3], s[28:29], s18, v18, 0
	v_mul_lo_u32 v19, s18, v19
	s_mov_b64 s[28:29], 0
	v_add3_u32 v3, v3, v19, v20
	v_lshlrev_b64 v[2:3], 2, v[2:3]
	v_add_co_u32_e32 v19, vcc, v16, v2
	v_addc_co_u32_e32 v20, vcc, v17, v3, vcc
	v_mov_b32_e32 v2, v8
.LBB11_42:                              ;   Parent Loop BB11_33 Depth=1
                                        ;     Parent Loop BB11_37 Depth=2
                                        ;       Parent Loop BB11_40 Depth=3
                                        ; =>      This Inner Loop Header: Depth=4
	v_ashrrev_i32_e32 v3, 31, v2
	v_lshlrev_b64 v[21:22], 2, v[2:3]
	v_add_u32_e32 v2, 1, v2
	v_add_co_u32_e32 v21, vcc, v19, v21
	v_addc_co_u32_e32 v22, vcc, v20, v22, vcc
	global_load_dword v3, v[21:22], off
	v_cmp_ge_i32_e32 vcc, v2, v9
	s_or_b64 s[28:29], vcc, s[28:29]
	s_waitcnt vmcnt(0)
	v_add_f32_e32 v12, v12, v3
	s_andn2_b64 exec, exec, s[28:29]
	s_cbranch_execnz .LBB11_42
; %bb.43:                               ;   in Loop: Header=BB11_40 Depth=3
	s_or_b64 exec, exec, s[28:29]
	s_branch .LBB11_39
.LBB11_44:
	s_endpgm
	.section	.rodata,"a",@progbits
	.p2align	6, 0x0
	.amdhsa_kernel _ZN2at6native12_GLOBAL__N_137upsample_nearest3d_backward_out_frameIffXadL_ZNS0_40nearest_neighbor_bw_compute_source_indexEfiiEEEEvPKT_mmmmmmmmPS3_fff
		.amdhsa_group_segment_fixed_size 0
		.amdhsa_private_segment_fixed_size 0
		.amdhsa_kernarg_size 352
		.amdhsa_user_sgpr_count 6
		.amdhsa_user_sgpr_private_segment_buffer 1
		.amdhsa_user_sgpr_dispatch_ptr 0
		.amdhsa_user_sgpr_queue_ptr 0
		.amdhsa_user_sgpr_kernarg_segment_ptr 1
		.amdhsa_user_sgpr_dispatch_id 0
		.amdhsa_user_sgpr_flat_scratch_init 0
		.amdhsa_user_sgpr_private_segment_size 0
		.amdhsa_uses_dynamic_stack 0
		.amdhsa_system_sgpr_private_segment_wavefront_offset 0
		.amdhsa_system_sgpr_workgroup_id_x 1
		.amdhsa_system_sgpr_workgroup_id_y 0
		.amdhsa_system_sgpr_workgroup_id_z 0
		.amdhsa_system_sgpr_workgroup_info 0
		.amdhsa_system_vgpr_workitem_id 0
		.amdhsa_next_free_vgpr 23
		.amdhsa_next_free_sgpr 37
		.amdhsa_reserve_vcc 1
		.amdhsa_reserve_flat_scratch 0
		.amdhsa_float_round_mode_32 0
		.amdhsa_float_round_mode_16_64 0
		.amdhsa_float_denorm_mode_32 3
		.amdhsa_float_denorm_mode_16_64 3
		.amdhsa_dx10_clamp 1
		.amdhsa_ieee_mode 1
		.amdhsa_fp16_overflow 0
		.amdhsa_exception_fp_ieee_invalid_op 0
		.amdhsa_exception_fp_denorm_src 0
		.amdhsa_exception_fp_ieee_div_zero 0
		.amdhsa_exception_fp_ieee_overflow 0
		.amdhsa_exception_fp_ieee_underflow 0
		.amdhsa_exception_fp_ieee_inexact 0
		.amdhsa_exception_int_div_zero 0
	.end_amdhsa_kernel
	.section	.text._ZN2at6native12_GLOBAL__N_137upsample_nearest3d_backward_out_frameIffXadL_ZNS0_40nearest_neighbor_bw_compute_source_indexEfiiEEEEvPKT_mmmmmmmmPS3_fff,"axG",@progbits,_ZN2at6native12_GLOBAL__N_137upsample_nearest3d_backward_out_frameIffXadL_ZNS0_40nearest_neighbor_bw_compute_source_indexEfiiEEEEvPKT_mmmmmmmmPS3_fff,comdat
.Lfunc_end11:
	.size	_ZN2at6native12_GLOBAL__N_137upsample_nearest3d_backward_out_frameIffXadL_ZNS0_40nearest_neighbor_bw_compute_source_indexEfiiEEEEvPKT_mmmmmmmmPS3_fff, .Lfunc_end11-_ZN2at6native12_GLOBAL__N_137upsample_nearest3d_backward_out_frameIffXadL_ZNS0_40nearest_neighbor_bw_compute_source_indexEfiiEEEEvPKT_mmmmmmmmPS3_fff
                                        ; -- End function
	.set _ZN2at6native12_GLOBAL__N_137upsample_nearest3d_backward_out_frameIffXadL_ZNS0_40nearest_neighbor_bw_compute_source_indexEfiiEEEEvPKT_mmmmmmmmPS3_fff.num_vgpr, 23
	.set _ZN2at6native12_GLOBAL__N_137upsample_nearest3d_backward_out_frameIffXadL_ZNS0_40nearest_neighbor_bw_compute_source_indexEfiiEEEEvPKT_mmmmmmmmPS3_fff.num_agpr, 0
	.set _ZN2at6native12_GLOBAL__N_137upsample_nearest3d_backward_out_frameIffXadL_ZNS0_40nearest_neighbor_bw_compute_source_indexEfiiEEEEvPKT_mmmmmmmmPS3_fff.numbered_sgpr, 37
	.set _ZN2at6native12_GLOBAL__N_137upsample_nearest3d_backward_out_frameIffXadL_ZNS0_40nearest_neighbor_bw_compute_source_indexEfiiEEEEvPKT_mmmmmmmmPS3_fff.num_named_barrier, 0
	.set _ZN2at6native12_GLOBAL__N_137upsample_nearest3d_backward_out_frameIffXadL_ZNS0_40nearest_neighbor_bw_compute_source_indexEfiiEEEEvPKT_mmmmmmmmPS3_fff.private_seg_size, 0
	.set _ZN2at6native12_GLOBAL__N_137upsample_nearest3d_backward_out_frameIffXadL_ZNS0_40nearest_neighbor_bw_compute_source_indexEfiiEEEEvPKT_mmmmmmmmPS3_fff.uses_vcc, 1
	.set _ZN2at6native12_GLOBAL__N_137upsample_nearest3d_backward_out_frameIffXadL_ZNS0_40nearest_neighbor_bw_compute_source_indexEfiiEEEEvPKT_mmmmmmmmPS3_fff.uses_flat_scratch, 0
	.set _ZN2at6native12_GLOBAL__N_137upsample_nearest3d_backward_out_frameIffXadL_ZNS0_40nearest_neighbor_bw_compute_source_indexEfiiEEEEvPKT_mmmmmmmmPS3_fff.has_dyn_sized_stack, 0
	.set _ZN2at6native12_GLOBAL__N_137upsample_nearest3d_backward_out_frameIffXadL_ZNS0_40nearest_neighbor_bw_compute_source_indexEfiiEEEEvPKT_mmmmmmmmPS3_fff.has_recursion, 0
	.set _ZN2at6native12_GLOBAL__N_137upsample_nearest3d_backward_out_frameIffXadL_ZNS0_40nearest_neighbor_bw_compute_source_indexEfiiEEEEvPKT_mmmmmmmmPS3_fff.has_indirect_call, 0
	.section	.AMDGPU.csdata,"",@progbits
; Kernel info:
; codeLenInByte = 5612
; TotalNumSgprs: 41
; NumVgprs: 23
; ScratchSize: 0
; MemoryBound: 0
; FloatMode: 240
; IeeeMode: 1
; LDSByteSize: 0 bytes/workgroup (compile time only)
; SGPRBlocks: 5
; VGPRBlocks: 5
; NumSGPRsForWavesPerEU: 41
; NumVGPRsForWavesPerEU: 23
; Occupancy: 10
; WaveLimiterHint : 0
; COMPUTE_PGM_RSRC2:SCRATCH_EN: 0
; COMPUTE_PGM_RSRC2:USER_SGPR: 6
; COMPUTE_PGM_RSRC2:TRAP_HANDLER: 0
; COMPUTE_PGM_RSRC2:TGID_X_EN: 1
; COMPUTE_PGM_RSRC2:TGID_Y_EN: 0
; COMPUTE_PGM_RSRC2:TGID_Z_EN: 0
; COMPUTE_PGM_RSRC2:TIDIG_COMP_CNT: 0
	.section	.text._ZN2at6native12_GLOBAL__N_137upsample_nearest3d_backward_out_frameIN3c104HalfEfXadL_ZNS0_40nearest_neighbor_bw_compute_source_indexEfiiEEEEvPKT_mmmmmmmmPS5_fff,"axG",@progbits,_ZN2at6native12_GLOBAL__N_137upsample_nearest3d_backward_out_frameIN3c104HalfEfXadL_ZNS0_40nearest_neighbor_bw_compute_source_indexEfiiEEEEvPKT_mmmmmmmmPS5_fff,comdat
	.globl	_ZN2at6native12_GLOBAL__N_137upsample_nearest3d_backward_out_frameIN3c104HalfEfXadL_ZNS0_40nearest_neighbor_bw_compute_source_indexEfiiEEEEvPKT_mmmmmmmmPS5_fff ; -- Begin function _ZN2at6native12_GLOBAL__N_137upsample_nearest3d_backward_out_frameIN3c104HalfEfXadL_ZNS0_40nearest_neighbor_bw_compute_source_indexEfiiEEEEvPKT_mmmmmmmmPS5_fff
	.p2align	8
	.type	_ZN2at6native12_GLOBAL__N_137upsample_nearest3d_backward_out_frameIN3c104HalfEfXadL_ZNS0_40nearest_neighbor_bw_compute_source_indexEfiiEEEEvPKT_mmmmmmmmPS5_fff,@function
_ZN2at6native12_GLOBAL__N_137upsample_nearest3d_backward_out_frameIN3c104HalfEfXadL_ZNS0_40nearest_neighbor_bw_compute_source_indexEfiiEEEEvPKT_mmmmmmmmPS5_fff: ; @_ZN2at6native12_GLOBAL__N_137upsample_nearest3d_backward_out_frameIN3c104HalfEfXadL_ZNS0_40nearest_neighbor_bw_compute_source_indexEfiiEEEEvPKT_mmmmmmmmPS5_fff
; %bb.0:
	s_load_dword s0, s[4:5], 0x6c
	s_load_dwordx4 s[24:27], s[4:5], 0x40
	s_load_dwordx16 s[8:23], s[4:5], 0x0
	v_mov_b32_e32 v2, 0
	v_mov_b32_e32 v1, v2
	s_waitcnt lgkmcnt(0)
	s_and_b32 s0, s0, 0xffff
	v_mov_b32_e32 v3, s6
	v_mad_u64_u32 v[0:1], s[0:1], s0, v3, v[0:1]
	s_mul_i32 s0, s22, s21
	s_mul_hi_u32 s1, s22, s20
	s_add_i32 s7, s1, s0
	s_mul_i32 s0, s23, s20
	s_mul_i32 s6, s22, s20
	s_add_i32 s7, s7, s0
	s_mul_i32 s0, s6, s13
	s_mul_hi_u32 s1, s6, s12
	s_add_i32 s0, s1, s0
	s_mul_i32 s1, s7, s12
	s_mul_i32 s2, s6, s12
	s_add_i32 s0, s0, s1
	s_mul_i32 s1, s2, s25
	s_mul_hi_u32 s3, s2, s24
	s_mul_i32 s0, s0, s24
	s_add_i32 s1, s3, s1
	s_add_i32 s1, s1, s0
	s_mul_i32 s0, s2, s24
	v_cmp_gt_u64_e32 vcc, s[0:1], v[0:1]
	s_and_saveexec_b64 s[0:1], vcc
	s_cbranch_execz .LBB12_44
; %bb.1:
	v_or_b32_e32 v3, s23, v1
	v_cmp_ne_u64_e32 vcc, 0, v[2:3]
                                        ; implicit-def: $vgpr2_vgpr3
	s_and_saveexec_b64 s[0:1], vcc
	s_xor_b64 s[2:3], exec, s[0:1]
	s_cbranch_execz .LBB12_3
; %bb.2:
	v_cvt_f32_u32_e32 v2, s22
	v_cvt_f32_u32_e32 v3, s23
	s_sub_u32 s28, 0, s22
	s_subb_u32 s29, 0, s23
	v_madmk_f32 v2, v3, 0x4f800000, v2
	v_rcp_f32_e32 v2, v2
	v_mul_f32_e32 v2, 0x5f7ffffc, v2
	v_mul_f32_e32 v3, 0x2f800000, v2
	v_trunc_f32_e32 v3, v3
	v_madmk_f32 v2, v3, 0xcf800000, v2
	v_cvt_u32_f32_e32 v3, v3
	v_cvt_u32_f32_e32 v2, v2
	v_readfirstlane_b32 s30, v3
	v_readfirstlane_b32 s0, v2
	s_mul_i32 s1, s28, s30
	s_mul_hi_u32 s33, s28, s0
	s_mul_i32 s31, s29, s0
	s_add_i32 s1, s33, s1
	s_mul_i32 s34, s28, s0
	s_add_i32 s1, s1, s31
	s_mul_i32 s33, s0, s1
	s_mul_hi_u32 s35, s0, s34
	s_mul_hi_u32 s31, s0, s1
	s_add_u32 s33, s35, s33
	s_addc_u32 s31, 0, s31
	s_mul_hi_u32 s36, s30, s34
	s_mul_i32 s34, s30, s34
	s_add_u32 s33, s33, s34
	s_mul_hi_u32 s35, s30, s1
	s_addc_u32 s31, s31, s36
	s_addc_u32 s33, s35, 0
	s_mul_i32 s1, s30, s1
	s_add_u32 s1, s31, s1
	s_addc_u32 s31, 0, s33
	s_add_u32 s33, s0, s1
	s_cselect_b64 s[0:1], -1, 0
	s_cmp_lg_u64 s[0:1], 0
	s_addc_u32 s30, s30, s31
	s_mul_i32 s0, s28, s30
	s_mul_hi_u32 s1, s28, s33
	s_add_i32 s0, s1, s0
	s_mul_i32 s29, s29, s33
	s_add_i32 s0, s0, s29
	s_mul_i32 s28, s28, s33
	s_mul_hi_u32 s29, s30, s28
	s_mul_i32 s31, s30, s28
	s_mul_i32 s35, s33, s0
	s_mul_hi_u32 s28, s33, s28
	s_mul_hi_u32 s34, s33, s0
	s_add_u32 s28, s28, s35
	s_addc_u32 s34, 0, s34
	s_add_u32 s28, s28, s31
	s_mul_hi_u32 s1, s30, s0
	s_addc_u32 s28, s34, s29
	s_addc_u32 s1, s1, 0
	s_mul_i32 s0, s30, s0
	s_add_u32 s0, s28, s0
	s_addc_u32 s28, 0, s1
	s_add_u32 s29, s33, s0
	s_cselect_b64 s[0:1], -1, 0
	s_cmp_lg_u64 s[0:1], 0
	s_addc_u32 s28, s30, s28
	v_mad_u64_u32 v[2:3], s[0:1], v0, s28, 0
	v_mul_hi_u32 v4, v0, s29
	v_add_co_u32_e32 v6, vcc, v4, v2
	v_addc_co_u32_e32 v7, vcc, 0, v3, vcc
	v_mad_u64_u32 v[2:3], s[0:1], v1, s29, 0
	v_mad_u64_u32 v[4:5], s[0:1], v1, s28, 0
	v_add_co_u32_e32 v2, vcc, v6, v2
	v_addc_co_u32_e32 v2, vcc, v7, v3, vcc
	v_addc_co_u32_e32 v3, vcc, 0, v5, vcc
	v_add_co_u32_e32 v4, vcc, v2, v4
	v_addc_co_u32_e32 v5, vcc, 0, v3, vcc
	v_mul_lo_u32 v6, s23, v4
	v_mul_lo_u32 v7, s22, v5
	v_mad_u64_u32 v[2:3], s[0:1], s22, v4, 0
	v_add3_u32 v3, v3, v7, v6
	v_sub_u32_e32 v6, v1, v3
	v_mov_b32_e32 v7, s23
	v_sub_co_u32_e32 v2, vcc, v0, v2
	v_subb_co_u32_e64 v6, s[0:1], v6, v7, vcc
	v_subrev_co_u32_e64 v7, s[0:1], s22, v2
	v_subbrev_co_u32_e64 v6, s[0:1], 0, v6, s[0:1]
	v_cmp_le_u32_e64 s[0:1], s23, v6
	v_cndmask_b32_e64 v8, 0, -1, s[0:1]
	v_cmp_le_u32_e64 s[0:1], s22, v7
	v_cndmask_b32_e64 v7, 0, -1, s[0:1]
	v_cmp_eq_u32_e64 s[0:1], s23, v6
	v_cndmask_b32_e64 v6, v8, v7, s[0:1]
	v_add_co_u32_e64 v7, s[0:1], 2, v4
	v_addc_co_u32_e64 v8, s[0:1], 0, v5, s[0:1]
	v_add_co_u32_e64 v9, s[0:1], 1, v4
	v_addc_co_u32_e64 v10, s[0:1], 0, v5, s[0:1]
	v_subb_co_u32_e32 v3, vcc, v1, v3, vcc
	v_cmp_ne_u32_e64 s[0:1], 0, v6
	v_cmp_le_u32_e32 vcc, s23, v3
	v_cndmask_b32_e64 v6, v10, v8, s[0:1]
	v_cndmask_b32_e64 v8, 0, -1, vcc
	v_cmp_le_u32_e32 vcc, s22, v2
	v_cndmask_b32_e64 v2, 0, -1, vcc
	v_cmp_eq_u32_e32 vcc, s23, v3
	v_cndmask_b32_e32 v2, v8, v2, vcc
	v_cmp_ne_u32_e32 vcc, 0, v2
	v_cndmask_b32_e64 v2, v9, v7, s[0:1]
	v_cndmask_b32_e32 v3, v5, v6, vcc
	v_cndmask_b32_e32 v2, v4, v2, vcc
.LBB12_3:
	s_andn2_saveexec_b64 s[0:1], s[2:3]
	s_cbranch_execz .LBB12_5
; %bb.4:
	v_cvt_f32_u32_e32 v2, s22
	s_sub_i32 s2, 0, s22
	v_rcp_iflag_f32_e32 v2, v2
	v_mul_f32_e32 v2, 0x4f7ffffe, v2
	v_cvt_u32_f32_e32 v2, v2
	v_mul_lo_u32 v3, s2, v2
	v_mul_hi_u32 v3, v2, v3
	v_add_u32_e32 v2, v2, v3
	v_mul_hi_u32 v2, v0, v2
	v_mul_lo_u32 v3, v2, s22
	v_add_u32_e32 v4, 1, v2
	v_sub_u32_e32 v3, v0, v3
	v_subrev_u32_e32 v5, s22, v3
	v_cmp_le_u32_e32 vcc, s22, v3
	v_cndmask_b32_e32 v3, v3, v5, vcc
	v_cndmask_b32_e32 v2, v2, v4, vcc
	v_add_u32_e32 v4, 1, v2
	v_cmp_le_u32_e32 vcc, s22, v3
	v_cndmask_b32_e32 v2, v2, v4, vcc
	v_mov_b32_e32 v3, 0
.LBB12_5:
	s_or_b64 exec, exec, s[0:1]
	v_or_b32_e32 v5, s25, v3
	v_mov_b32_e32 v4, 0
	v_cmp_ne_u64_e32 vcc, 0, v[4:5]
                                        ; implicit-def: $vgpr4_vgpr5
	s_and_saveexec_b64 s[0:1], vcc
	s_xor_b64 s[2:3], exec, s[0:1]
	s_cbranch_execz .LBB12_7
; %bb.6:
	v_cvt_f32_u32_e32 v4, s24
	v_cvt_f32_u32_e32 v5, s25
	s_sub_u32 s28, 0, s24
	s_subb_u32 s29, 0, s25
	v_madmk_f32 v4, v5, 0x4f800000, v4
	v_rcp_f32_e32 v4, v4
	v_mul_f32_e32 v4, 0x5f7ffffc, v4
	v_mul_f32_e32 v5, 0x2f800000, v4
	v_trunc_f32_e32 v5, v5
	v_madmk_f32 v4, v5, 0xcf800000, v4
	v_cvt_u32_f32_e32 v5, v5
	v_cvt_u32_f32_e32 v4, v4
	v_readfirstlane_b32 s30, v5
	v_readfirstlane_b32 s0, v4
	s_mul_i32 s1, s28, s30
	s_mul_hi_u32 s33, s28, s0
	s_mul_i32 s31, s29, s0
	s_add_i32 s1, s33, s1
	s_mul_i32 s34, s28, s0
	s_add_i32 s1, s1, s31
	s_mul_i32 s33, s0, s1
	s_mul_hi_u32 s35, s0, s34
	s_mul_hi_u32 s31, s0, s1
	s_add_u32 s33, s35, s33
	s_addc_u32 s31, 0, s31
	s_mul_hi_u32 s36, s30, s34
	s_mul_i32 s34, s30, s34
	s_add_u32 s33, s33, s34
	s_mul_hi_u32 s35, s30, s1
	s_addc_u32 s31, s31, s36
	s_addc_u32 s33, s35, 0
	s_mul_i32 s1, s30, s1
	s_add_u32 s1, s31, s1
	s_addc_u32 s31, 0, s33
	s_add_u32 s33, s0, s1
	s_cselect_b64 s[0:1], -1, 0
	s_cmp_lg_u64 s[0:1], 0
	s_addc_u32 s30, s30, s31
	s_mul_i32 s0, s28, s30
	s_mul_hi_u32 s1, s28, s33
	s_add_i32 s0, s1, s0
	s_mul_i32 s29, s29, s33
	s_add_i32 s0, s0, s29
	s_mul_i32 s28, s28, s33
	s_mul_hi_u32 s29, s30, s28
	s_mul_i32 s31, s30, s28
	s_mul_i32 s35, s33, s0
	s_mul_hi_u32 s28, s33, s28
	s_mul_hi_u32 s34, s33, s0
	s_add_u32 s28, s28, s35
	s_addc_u32 s34, 0, s34
	s_add_u32 s28, s28, s31
	s_mul_hi_u32 s1, s30, s0
	s_addc_u32 s28, s34, s29
	s_addc_u32 s1, s1, 0
	s_mul_i32 s0, s30, s0
	s_add_u32 s0, s28, s0
	s_addc_u32 s28, 0, s1
	s_add_u32 s29, s33, s0
	s_cselect_b64 s[0:1], -1, 0
	s_cmp_lg_u64 s[0:1], 0
	s_addc_u32 s28, s30, s28
	v_mad_u64_u32 v[4:5], s[0:1], v2, s28, 0
	v_mul_hi_u32 v6, v2, s29
	v_add_co_u32_e32 v8, vcc, v6, v4
	v_addc_co_u32_e32 v9, vcc, 0, v5, vcc
	v_mad_u64_u32 v[4:5], s[0:1], v3, s29, 0
	v_mad_u64_u32 v[6:7], s[0:1], v3, s28, 0
	v_add_co_u32_e32 v4, vcc, v8, v4
	v_addc_co_u32_e32 v4, vcc, v9, v5, vcc
	v_addc_co_u32_e32 v5, vcc, 0, v7, vcc
	v_add_co_u32_e32 v6, vcc, v4, v6
	v_addc_co_u32_e32 v7, vcc, 0, v5, vcc
	v_mul_lo_u32 v8, s25, v6
	v_mul_lo_u32 v9, s24, v7
	v_mad_u64_u32 v[4:5], s[0:1], s24, v6, 0
	v_add3_u32 v5, v5, v9, v8
	v_sub_u32_e32 v8, v3, v5
	v_mov_b32_e32 v9, s25
	v_sub_co_u32_e32 v2, vcc, v2, v4
	v_subb_co_u32_e64 v4, s[0:1], v8, v9, vcc
	v_subrev_co_u32_e64 v8, s[0:1], s24, v2
	v_subbrev_co_u32_e64 v4, s[0:1], 0, v4, s[0:1]
	v_cmp_le_u32_e64 s[0:1], s25, v4
	v_cndmask_b32_e64 v9, 0, -1, s[0:1]
	v_cmp_le_u32_e64 s[0:1], s24, v8
	v_cndmask_b32_e64 v8, 0, -1, s[0:1]
	v_cmp_eq_u32_e64 s[0:1], s25, v4
	v_cndmask_b32_e64 v4, v9, v8, s[0:1]
	v_add_co_u32_e64 v8, s[0:1], 2, v6
	v_subb_co_u32_e32 v3, vcc, v3, v5, vcc
	v_addc_co_u32_e64 v9, s[0:1], 0, v7, s[0:1]
	v_cmp_le_u32_e32 vcc, s25, v3
	v_add_co_u32_e64 v10, s[0:1], 1, v6
	v_cndmask_b32_e64 v5, 0, -1, vcc
	v_cmp_le_u32_e32 vcc, s24, v2
	v_addc_co_u32_e64 v11, s[0:1], 0, v7, s[0:1]
	v_cndmask_b32_e64 v2, 0, -1, vcc
	v_cmp_eq_u32_e32 vcc, s25, v3
	v_cmp_ne_u32_e64 s[0:1], 0, v4
	v_cndmask_b32_e32 v2, v5, v2, vcc
	v_cndmask_b32_e64 v4, v11, v9, s[0:1]
	v_cmp_ne_u32_e32 vcc, 0, v2
	v_cndmask_b32_e64 v2, v10, v8, s[0:1]
	v_cndmask_b32_e32 v5, v7, v4, vcc
	v_cndmask_b32_e32 v4, v6, v2, vcc
                                        ; implicit-def: $vgpr2_vgpr3
.LBB12_7:
	s_andn2_saveexec_b64 s[0:1], s[2:3]
	s_cbranch_execz .LBB12_9
; %bb.8:
	v_cvt_f32_u32_e32 v3, s24
	s_sub_i32 s2, 0, s24
	v_rcp_iflag_f32_e32 v3, v3
	v_mul_f32_e32 v3, 0x4f7ffffe, v3
	v_cvt_u32_f32_e32 v3, v3
	v_mul_lo_u32 v4, s2, v3
	v_mul_hi_u32 v4, v3, v4
	v_add_u32_e32 v3, v3, v4
	v_mul_hi_u32 v3, v2, v3
	v_mul_lo_u32 v4, v3, s24
	v_add_u32_e32 v5, 1, v3
	v_sub_u32_e32 v2, v2, v4
	v_subrev_u32_e32 v4, s24, v2
	v_cmp_le_u32_e32 vcc, s24, v2
	v_cndmask_b32_e32 v2, v2, v4, vcc
	v_cndmask_b32_e32 v3, v3, v5, vcc
	v_add_u32_e32 v4, 1, v3
	v_cmp_le_u32_e32 vcc, s24, v2
	v_cndmask_b32_e32 v4, v3, v4, vcc
	v_mov_b32_e32 v5, 0
.LBB12_9:
	s_or_b64 exec, exec, s[0:1]
	v_or_b32_e32 v3, s21, v5
	v_mov_b32_e32 v2, 0
	v_cmp_ne_u64_e32 vcc, 0, v[2:3]
                                        ; implicit-def: $vgpr2_vgpr3
	s_and_saveexec_b64 s[0:1], vcc
	s_xor_b64 s[2:3], exec, s[0:1]
	s_cbranch_execz .LBB12_11
; %bb.10:
	v_cvt_f32_u32_e32 v2, s20
	v_cvt_f32_u32_e32 v3, s21
	s_sub_u32 s28, 0, s20
	s_subb_u32 s29, 0, s21
	v_madmk_f32 v2, v3, 0x4f800000, v2
	v_rcp_f32_e32 v2, v2
	v_mul_f32_e32 v2, 0x5f7ffffc, v2
	v_mul_f32_e32 v3, 0x2f800000, v2
	v_trunc_f32_e32 v3, v3
	v_madmk_f32 v2, v3, 0xcf800000, v2
	v_cvt_u32_f32_e32 v3, v3
	v_cvt_u32_f32_e32 v2, v2
	v_readfirstlane_b32 s30, v3
	v_readfirstlane_b32 s0, v2
	s_mul_i32 s1, s28, s30
	s_mul_hi_u32 s33, s28, s0
	s_mul_i32 s31, s29, s0
	s_add_i32 s1, s33, s1
	s_mul_i32 s34, s28, s0
	s_add_i32 s1, s1, s31
	s_mul_i32 s33, s0, s1
	s_mul_hi_u32 s35, s0, s34
	s_mul_hi_u32 s31, s0, s1
	s_add_u32 s33, s35, s33
	s_addc_u32 s31, 0, s31
	s_mul_hi_u32 s36, s30, s34
	s_mul_i32 s34, s30, s34
	s_add_u32 s33, s33, s34
	s_mul_hi_u32 s35, s30, s1
	s_addc_u32 s31, s31, s36
	s_addc_u32 s33, s35, 0
	s_mul_i32 s1, s30, s1
	s_add_u32 s1, s31, s1
	s_addc_u32 s31, 0, s33
	s_add_u32 s33, s0, s1
	s_cselect_b64 s[0:1], -1, 0
	s_cmp_lg_u64 s[0:1], 0
	s_addc_u32 s30, s30, s31
	s_mul_i32 s0, s28, s30
	s_mul_hi_u32 s1, s28, s33
	s_add_i32 s0, s1, s0
	s_mul_i32 s29, s29, s33
	s_add_i32 s0, s0, s29
	s_mul_i32 s28, s28, s33
	s_mul_hi_u32 s29, s30, s28
	s_mul_i32 s31, s30, s28
	s_mul_i32 s35, s33, s0
	s_mul_hi_u32 s28, s33, s28
	s_mul_hi_u32 s34, s33, s0
	s_add_u32 s28, s28, s35
	s_addc_u32 s34, 0, s34
	s_add_u32 s28, s28, s31
	s_mul_hi_u32 s1, s30, s0
	s_addc_u32 s28, s34, s29
	s_addc_u32 s1, s1, 0
	s_mul_i32 s0, s30, s0
	s_add_u32 s0, s28, s0
	s_addc_u32 s28, 0, s1
	s_add_u32 s29, s33, s0
	s_cselect_b64 s[0:1], -1, 0
	s_cmp_lg_u64 s[0:1], 0
	s_addc_u32 s28, s30, s28
	v_mad_u64_u32 v[2:3], s[0:1], v4, s28, 0
	v_mul_hi_u32 v6, v4, s29
	v_add_co_u32_e32 v8, vcc, v6, v2
	v_addc_co_u32_e32 v9, vcc, 0, v3, vcc
	v_mad_u64_u32 v[2:3], s[0:1], v5, s29, 0
	v_mad_u64_u32 v[6:7], s[0:1], v5, s28, 0
	v_add_co_u32_e32 v2, vcc, v8, v2
	v_addc_co_u32_e32 v2, vcc, v9, v3, vcc
	v_addc_co_u32_e32 v3, vcc, 0, v7, vcc
	v_add_co_u32_e32 v2, vcc, v2, v6
	v_addc_co_u32_e32 v3, vcc, 0, v3, vcc
	v_mul_lo_u32 v6, s21, v2
	v_mul_lo_u32 v7, s20, v3
	v_mad_u64_u32 v[2:3], s[0:1], s20, v2, 0
	v_add3_u32 v3, v3, v7, v6
	v_sub_u32_e32 v6, v5, v3
	v_mov_b32_e32 v7, s21
	v_sub_co_u32_e32 v2, vcc, v4, v2
	v_subb_co_u32_e64 v4, s[0:1], v6, v7, vcc
	v_subrev_co_u32_e64 v6, s[0:1], s20, v2
	v_subbrev_co_u32_e64 v4, s[0:1], 0, v4, s[0:1]
	v_cmp_le_u32_e64 s[0:1], s21, v4
	v_subb_co_u32_e32 v3, vcc, v5, v3, vcc
	v_cndmask_b32_e64 v7, 0, -1, s[0:1]
	v_cmp_le_u32_e64 s[0:1], s20, v6
	v_cmp_le_u32_e32 vcc, s21, v3
	v_cndmask_b32_e64 v8, 0, -1, s[0:1]
	v_cmp_eq_u32_e64 s[0:1], s21, v4
	v_cndmask_b32_e64 v5, 0, -1, vcc
	v_cmp_le_u32_e32 vcc, s20, v2
	v_cndmask_b32_e64 v4, v7, v8, s[0:1]
	v_cndmask_b32_e64 v8, 0, -1, vcc
	v_cmp_eq_u32_e32 vcc, s21, v3
	v_subrev_co_u32_e64 v7, s[0:1], s20, v6
	v_cndmask_b32_e32 v3, v5, v8, vcc
	v_cmp_ne_u32_e32 vcc, 0, v4
	v_cndmask_b32_e32 v4, v6, v7, vcc
	v_cmp_ne_u32_e32 vcc, 0, v3
	v_cndmask_b32_e32 v2, v2, v4, vcc
                                        ; implicit-def: $vgpr4_vgpr5
.LBB12_11:
	s_andn2_saveexec_b64 s[0:1], s[2:3]
	s_cbranch_execz .LBB12_13
; %bb.12:
	v_cvt_f32_u32_e32 v2, s20
	s_sub_i32 s2, 0, s20
	v_rcp_iflag_f32_e32 v2, v2
	v_mul_f32_e32 v2, 0x4f7ffffe, v2
	v_cvt_u32_f32_e32 v2, v2
	v_mul_lo_u32 v3, s2, v2
	v_mul_hi_u32 v3, v2, v3
	v_add_u32_e32 v2, v2, v3
	v_mul_hi_u32 v2, v4, v2
	v_mul_lo_u32 v2, v2, s20
	v_sub_u32_e32 v2, v4, v2
	v_subrev_u32_e32 v3, s20, v2
	v_cmp_le_u32_e32 vcc, s20, v2
	v_cndmask_b32_e32 v2, v2, v3, vcc
	v_subrev_u32_e32 v3, s20, v2
	v_cmp_le_u32_e32 vcc, s20, v2
	v_cndmask_b32_e32 v2, v2, v3, vcc
.LBB12_13:
	s_or_b64 exec, exec, s[0:1]
	v_or_b32_e32 v4, s25, v1
	v_mov_b32_e32 v3, 0
	v_cmp_ne_u64_e32 vcc, 0, v[3:4]
                                        ; implicit-def: $vgpr3_vgpr4
	s_and_saveexec_b64 s[0:1], vcc
	s_xor_b64 s[2:3], exec, s[0:1]
	s_cbranch_execz .LBB12_15
; %bb.14:
	v_cvt_f32_u32_e32 v3, s24
	v_cvt_f32_u32_e32 v4, s25
	s_sub_u32 s20, 0, s24
	s_subb_u32 s21, 0, s25
	v_madmk_f32 v3, v4, 0x4f800000, v3
	v_rcp_f32_e32 v3, v3
	v_mul_f32_e32 v3, 0x5f7ffffc, v3
	v_mul_f32_e32 v4, 0x2f800000, v3
	v_trunc_f32_e32 v4, v4
	v_madmk_f32 v3, v4, 0xcf800000, v3
	v_cvt_u32_f32_e32 v4, v4
	v_cvt_u32_f32_e32 v3, v3
	v_readfirstlane_b32 s28, v4
	v_readfirstlane_b32 s0, v3
	s_mul_i32 s1, s20, s28
	s_mul_hi_u32 s30, s20, s0
	s_mul_i32 s29, s21, s0
	s_add_i32 s1, s30, s1
	s_mul_i32 s31, s20, s0
	s_add_i32 s1, s1, s29
	s_mul_i32 s30, s0, s1
	s_mul_hi_u32 s33, s0, s31
	s_mul_hi_u32 s29, s0, s1
	s_add_u32 s30, s33, s30
	s_addc_u32 s29, 0, s29
	s_mul_hi_u32 s34, s28, s31
	s_mul_i32 s31, s28, s31
	s_add_u32 s30, s30, s31
	s_mul_hi_u32 s33, s28, s1
	s_addc_u32 s29, s29, s34
	s_addc_u32 s30, s33, 0
	s_mul_i32 s1, s28, s1
	s_add_u32 s1, s29, s1
	s_addc_u32 s29, 0, s30
	s_add_u32 s30, s0, s1
	s_cselect_b64 s[0:1], -1, 0
	s_cmp_lg_u64 s[0:1], 0
	s_addc_u32 s28, s28, s29
	s_mul_i32 s0, s20, s28
	s_mul_hi_u32 s1, s20, s30
	s_add_i32 s0, s1, s0
	s_mul_i32 s21, s21, s30
	s_add_i32 s0, s0, s21
	s_mul_i32 s20, s20, s30
	s_mul_hi_u32 s21, s28, s20
	s_mul_i32 s29, s28, s20
	s_mul_i32 s33, s30, s0
	s_mul_hi_u32 s20, s30, s20
	s_mul_hi_u32 s31, s30, s0
	s_add_u32 s20, s20, s33
	s_addc_u32 s31, 0, s31
	s_add_u32 s20, s20, s29
	s_mul_hi_u32 s1, s28, s0
	s_addc_u32 s20, s31, s21
	s_addc_u32 s1, s1, 0
	s_mul_i32 s0, s28, s0
	s_add_u32 s0, s20, s0
	s_addc_u32 s20, 0, s1
	s_add_u32 s21, s30, s0
	s_cselect_b64 s[0:1], -1, 0
	s_cmp_lg_u64 s[0:1], 0
	s_addc_u32 s20, s28, s20
	v_mad_u64_u32 v[3:4], s[0:1], v0, s20, 0
	v_mul_hi_u32 v5, v0, s21
	v_add_co_u32_e32 v7, vcc, v5, v3
	v_addc_co_u32_e32 v8, vcc, 0, v4, vcc
	v_mad_u64_u32 v[3:4], s[0:1], v1, s21, 0
	v_mad_u64_u32 v[5:6], s[0:1], v1, s20, 0
	v_add_co_u32_e32 v3, vcc, v7, v3
	v_addc_co_u32_e32 v3, vcc, v8, v4, vcc
	v_addc_co_u32_e32 v4, vcc, 0, v6, vcc
	v_add_co_u32_e32 v5, vcc, v3, v5
	v_addc_co_u32_e32 v6, vcc, 0, v4, vcc
	v_mul_lo_u32 v7, s25, v5
	v_mul_lo_u32 v8, s24, v6
	v_mad_u64_u32 v[3:4], s[0:1], s24, v5, 0
	v_add3_u32 v4, v4, v8, v7
	v_sub_u32_e32 v7, v1, v4
	v_mov_b32_e32 v8, s25
	v_sub_co_u32_e32 v3, vcc, v0, v3
	v_subb_co_u32_e64 v7, s[0:1], v7, v8, vcc
	v_subrev_co_u32_e64 v8, s[0:1], s24, v3
	v_subbrev_co_u32_e64 v7, s[0:1], 0, v7, s[0:1]
	v_cmp_le_u32_e64 s[0:1], s25, v7
	v_cndmask_b32_e64 v9, 0, -1, s[0:1]
	v_cmp_le_u32_e64 s[0:1], s24, v8
	v_cndmask_b32_e64 v8, 0, -1, s[0:1]
	v_cmp_eq_u32_e64 s[0:1], s25, v7
	v_cndmask_b32_e64 v7, v9, v8, s[0:1]
	v_add_co_u32_e64 v8, s[0:1], 2, v5
	v_addc_co_u32_e64 v9, s[0:1], 0, v6, s[0:1]
	v_add_co_u32_e64 v10, s[0:1], 1, v5
	v_addc_co_u32_e64 v11, s[0:1], 0, v6, s[0:1]
	v_subb_co_u32_e32 v4, vcc, v1, v4, vcc
	v_cmp_ne_u32_e64 s[0:1], 0, v7
	v_cmp_le_u32_e32 vcc, s25, v4
	v_cndmask_b32_e64 v7, v11, v9, s[0:1]
	v_cndmask_b32_e64 v9, 0, -1, vcc
	v_cmp_le_u32_e32 vcc, s24, v3
	v_cndmask_b32_e64 v3, 0, -1, vcc
	v_cmp_eq_u32_e32 vcc, s25, v4
	v_cndmask_b32_e32 v3, v9, v3, vcc
	v_cmp_ne_u32_e32 vcc, 0, v3
	v_cndmask_b32_e64 v3, v10, v8, s[0:1]
	v_cndmask_b32_e32 v4, v6, v7, vcc
	v_cndmask_b32_e32 v3, v5, v3, vcc
.LBB12_15:
	s_andn2_saveexec_b64 s[0:1], s[2:3]
	s_cbranch_execz .LBB12_17
; %bb.16:
	v_cvt_f32_u32_e32 v3, s24
	s_sub_i32 s2, 0, s24
	v_rcp_iflag_f32_e32 v3, v3
	v_mul_f32_e32 v3, 0x4f7ffffe, v3
	v_cvt_u32_f32_e32 v3, v3
	v_mul_lo_u32 v4, s2, v3
	v_mul_hi_u32 v4, v3, v4
	v_add_u32_e32 v3, v3, v4
	v_mul_hi_u32 v3, v0, v3
	v_mul_lo_u32 v4, v3, s24
	v_add_u32_e32 v5, 1, v3
	v_sub_u32_e32 v4, v0, v4
	v_subrev_u32_e32 v6, s24, v4
	v_cmp_le_u32_e32 vcc, s24, v4
	v_cndmask_b32_e32 v4, v4, v6, vcc
	v_cndmask_b32_e32 v3, v3, v5, vcc
	v_add_u32_e32 v5, 1, v3
	v_cmp_le_u32_e32 vcc, s24, v4
	v_cndmask_b32_e32 v3, v3, v5, vcc
	v_mov_b32_e32 v4, 0
.LBB12_17:
	s_or_b64 exec, exec, s[0:1]
	v_or_b32_e32 v6, s23, v4
	v_mov_b32_e32 v5, 0
	v_cmp_ne_u64_e32 vcc, 0, v[5:6]
                                        ; implicit-def: $vgpr5_vgpr6
	s_and_saveexec_b64 s[0:1], vcc
	s_xor_b64 s[2:3], exec, s[0:1]
	s_cbranch_execnz .LBB12_20
; %bb.18:
	s_andn2_saveexec_b64 s[0:1], s[2:3]
	s_cbranch_execnz .LBB12_21
.LBB12_19:
	s_or_b64 exec, exec, s[0:1]
	s_cmp_eq_u64 s[10:11], 0
	s_cbranch_scc0 .LBB12_22
	s_branch .LBB12_44
.LBB12_20:
	v_cvt_f32_u32_e32 v5, s22
	v_cvt_f32_u32_e32 v6, s23
	s_sub_u32 s20, 0, s22
	s_subb_u32 s21, 0, s23
	v_madmk_f32 v5, v6, 0x4f800000, v5
	v_rcp_f32_e32 v5, v5
	v_mul_f32_e32 v5, 0x5f7ffffc, v5
	v_mul_f32_e32 v6, 0x2f800000, v5
	v_trunc_f32_e32 v6, v6
	v_madmk_f32 v5, v6, 0xcf800000, v5
	v_cvt_u32_f32_e32 v6, v6
	v_cvt_u32_f32_e32 v5, v5
	v_readfirstlane_b32 s28, v6
	v_readfirstlane_b32 s0, v5
	s_mul_i32 s1, s20, s28
	s_mul_hi_u32 s30, s20, s0
	s_mul_i32 s29, s21, s0
	s_add_i32 s1, s30, s1
	s_mul_i32 s31, s20, s0
	s_add_i32 s1, s1, s29
	s_mul_i32 s30, s0, s1
	s_mul_hi_u32 s33, s0, s31
	s_mul_hi_u32 s29, s0, s1
	s_add_u32 s30, s33, s30
	s_addc_u32 s29, 0, s29
	s_mul_hi_u32 s34, s28, s31
	s_mul_i32 s31, s28, s31
	s_add_u32 s30, s30, s31
	s_mul_hi_u32 s33, s28, s1
	s_addc_u32 s29, s29, s34
	s_addc_u32 s30, s33, 0
	s_mul_i32 s1, s28, s1
	s_add_u32 s1, s29, s1
	s_addc_u32 s29, 0, s30
	s_add_u32 s30, s0, s1
	s_cselect_b64 s[0:1], -1, 0
	s_cmp_lg_u64 s[0:1], 0
	s_addc_u32 s28, s28, s29
	s_mul_i32 s0, s20, s28
	s_mul_hi_u32 s1, s20, s30
	s_add_i32 s0, s1, s0
	s_mul_i32 s21, s21, s30
	s_add_i32 s0, s0, s21
	s_mul_i32 s20, s20, s30
	s_mul_hi_u32 s21, s28, s20
	s_mul_i32 s29, s28, s20
	s_mul_i32 s33, s30, s0
	s_mul_hi_u32 s20, s30, s20
	s_mul_hi_u32 s31, s30, s0
	s_add_u32 s20, s20, s33
	s_addc_u32 s31, 0, s31
	s_add_u32 s20, s20, s29
	s_mul_hi_u32 s1, s28, s0
	s_addc_u32 s20, s31, s21
	s_addc_u32 s1, s1, 0
	s_mul_i32 s0, s28, s0
	s_add_u32 s0, s20, s0
	s_addc_u32 s20, 0, s1
	s_add_u32 s21, s30, s0
	s_cselect_b64 s[0:1], -1, 0
	s_cmp_lg_u64 s[0:1], 0
	s_addc_u32 s20, s28, s20
	v_mad_u64_u32 v[5:6], s[0:1], v3, s20, 0
	v_mul_hi_u32 v7, v3, s21
	v_add_co_u32_e32 v9, vcc, v7, v5
	v_addc_co_u32_e32 v10, vcc, 0, v6, vcc
	v_mad_u64_u32 v[5:6], s[0:1], v4, s21, 0
	v_mad_u64_u32 v[7:8], s[0:1], v4, s20, 0
	v_add_co_u32_e32 v5, vcc, v9, v5
	v_addc_co_u32_e32 v5, vcc, v10, v6, vcc
	v_addc_co_u32_e32 v6, vcc, 0, v8, vcc
	v_add_co_u32_e32 v5, vcc, v5, v7
	v_addc_co_u32_e32 v6, vcc, 0, v6, vcc
	v_mul_lo_u32 v7, s23, v5
	v_mul_lo_u32 v8, s22, v6
	v_mad_u64_u32 v[5:6], s[0:1], s22, v5, 0
	v_add3_u32 v6, v6, v8, v7
	v_sub_u32_e32 v7, v4, v6
	v_mov_b32_e32 v8, s23
	v_sub_co_u32_e32 v5, vcc, v3, v5
	v_subb_co_u32_e64 v7, s[0:1], v7, v8, vcc
	v_subrev_co_u32_e64 v8, s[0:1], s22, v5
	v_subbrev_co_u32_e64 v7, s[0:1], 0, v7, s[0:1]
	v_cmp_le_u32_e64 s[0:1], s23, v7
	v_subb_co_u32_e32 v4, vcc, v4, v6, vcc
	v_cndmask_b32_e64 v9, 0, -1, s[0:1]
	v_cmp_le_u32_e64 s[0:1], s22, v8
	v_cmp_le_u32_e32 vcc, s23, v4
	v_cndmask_b32_e64 v10, 0, -1, s[0:1]
	v_cmp_eq_u32_e64 s[0:1], s23, v7
	v_cndmask_b32_e64 v6, 0, -1, vcc
	v_cmp_le_u32_e32 vcc, s22, v5
	v_cndmask_b32_e64 v7, v9, v10, s[0:1]
	v_cndmask_b32_e64 v10, 0, -1, vcc
	v_cmp_eq_u32_e32 vcc, s23, v4
	v_subrev_co_u32_e64 v9, s[0:1], s22, v8
	v_cndmask_b32_e32 v4, v6, v10, vcc
	v_cmp_ne_u32_e32 vcc, 0, v7
	v_cndmask_b32_e32 v6, v8, v9, vcc
	v_cmp_ne_u32_e32 vcc, 0, v4
	v_cndmask_b32_e32 v5, v5, v6, vcc
	s_andn2_saveexec_b64 s[0:1], s[2:3]
	s_cbranch_execz .LBB12_19
.LBB12_21:
	v_cvt_f32_u32_e32 v4, s22
	s_sub_i32 s2, 0, s22
	v_rcp_iflag_f32_e32 v4, v4
	v_mul_f32_e32 v4, 0x4f7ffffe, v4
	v_cvt_u32_f32_e32 v4, v4
	v_mul_lo_u32 v5, s2, v4
	v_mul_hi_u32 v5, v4, v5
	v_add_u32_e32 v4, v4, v5
	v_mul_hi_u32 v4, v3, v4
	v_mul_lo_u32 v4, v4, s22
	v_sub_u32_e32 v4, v3, v4
	v_subrev_u32_e32 v5, s22, v4
	v_cmp_le_u32_e32 vcc, s22, v4
	v_cndmask_b32_e32 v4, v4, v5, vcc
	v_subrev_u32_e32 v5, s22, v4
	v_cmp_le_u32_e32 vcc, s22, v4
	v_cndmask_b32_e32 v5, v4, v5, vcc
	s_or_b64 exec, exec, s[0:1]
	s_cmp_eq_u64 s[10:11], 0
	s_cbranch_scc1 .LBB12_44
.LBB12_22:
	s_mul_i32 s0, s6, s25
	s_mul_hi_u32 s1, s6, s24
	s_add_i32 s0, s1, s0
	s_mul_i32 s7, s7, s24
	s_add_i32 s22, s0, s7
	v_or_b32_e32 v7, s22, v1
	v_mov_b32_e32 v6, 0
	v_cmp_ne_u64_e32 vcc, 0, v[6:7]
	s_mul_i32 s23, s6, s24
                                        ; implicit-def: $vgpr8_vgpr9
	s_and_saveexec_b64 s[0:1], vcc
	s_xor_b64 s[2:3], exec, s[0:1]
	s_cbranch_execz .LBB12_24
; %bb.23:
	s_ashr_i32 s6, s22, 31
	s_add_u32 s0, s23, s6
	s_mov_b32 s7, s6
	s_addc_u32 s1, s22, s6
	s_xor_b64 s[20:21], s[0:1], s[6:7]
	v_cvt_f32_u32_e32 v4, s20
	v_cvt_f32_u32_e32 v6, s21
	s_sub_u32 s7, 0, s20
	s_subb_u32 s25, 0, s21
	v_madmk_f32 v4, v6, 0x4f800000, v4
	v_rcp_f32_e32 v4, v4
	v_mul_f32_e32 v4, 0x5f7ffffc, v4
	v_mul_f32_e32 v6, 0x2f800000, v4
	v_trunc_f32_e32 v6, v6
	v_madmk_f32 v4, v6, 0xcf800000, v4
	v_cvt_u32_f32_e32 v6, v6
	v_cvt_u32_f32_e32 v4, v4
	v_readfirstlane_b32 s28, v6
	v_readfirstlane_b32 s0, v4
	s_mul_i32 s1, s7, s28
	s_mul_hi_u32 s30, s7, s0
	s_mul_i32 s29, s25, s0
	s_add_i32 s1, s30, s1
	s_add_i32 s1, s1, s29
	s_mul_i32 s31, s7, s0
	s_mul_i32 s30, s0, s1
	s_mul_hi_u32 s33, s0, s31
	s_mul_hi_u32 s29, s0, s1
	s_add_u32 s30, s33, s30
	s_addc_u32 s29, 0, s29
	s_mul_hi_u32 s34, s28, s31
	s_mul_i32 s31, s28, s31
	s_add_u32 s30, s30, s31
	s_mul_hi_u32 s33, s28, s1
	s_addc_u32 s29, s29, s34
	s_addc_u32 s30, s33, 0
	s_mul_i32 s1, s28, s1
	s_add_u32 s1, s29, s1
	s_addc_u32 s29, 0, s30
	s_add_u32 s30, s0, s1
	s_cselect_b64 s[0:1], -1, 0
	s_cmp_lg_u64 s[0:1], 0
	s_addc_u32 s28, s28, s29
	s_mul_i32 s0, s7, s28
	s_mul_hi_u32 s1, s7, s30
	s_add_i32 s0, s1, s0
	s_mul_i32 s25, s25, s30
	s_add_i32 s0, s0, s25
	s_mul_i32 s7, s7, s30
	s_mul_hi_u32 s25, s28, s7
	s_mul_i32 s29, s28, s7
	s_mul_i32 s33, s30, s0
	s_mul_hi_u32 s7, s30, s7
	s_mul_hi_u32 s31, s30, s0
	s_add_u32 s7, s7, s33
	s_addc_u32 s31, 0, s31
	s_add_u32 s7, s7, s29
	s_mul_hi_u32 s1, s28, s0
	s_addc_u32 s7, s31, s25
	s_addc_u32 s1, s1, 0
	s_mul_i32 s0, s28, s0
	s_add_u32 s0, s7, s0
	s_addc_u32 s7, 0, s1
	s_add_u32 s25, s30, s0
	s_cselect_b64 s[0:1], -1, 0
	v_ashrrev_i32_e32 v4, 31, v1
	s_cmp_lg_u64 s[0:1], 0
	v_add_co_u32_e32 v6, vcc, v0, v4
	s_addc_u32 s7, s28, s7
	v_xor_b32_e32 v10, v6, v4
	v_mad_u64_u32 v[6:7], s[0:1], v10, s7, 0
	v_mul_hi_u32 v9, v10, s25
	v_addc_co_u32_e32 v8, vcc, v1, v4, vcc
	v_xor_b32_e32 v11, v8, v4
	v_add_co_u32_e32 v12, vcc, v9, v6
	v_addc_co_u32_e32 v13, vcc, 0, v7, vcc
	v_mad_u64_u32 v[6:7], s[0:1], v11, s25, 0
	v_mad_u64_u32 v[8:9], s[0:1], v11, s7, 0
	v_add_co_u32_e32 v6, vcc, v12, v6
	v_addc_co_u32_e32 v6, vcc, v13, v7, vcc
	v_addc_co_u32_e32 v7, vcc, 0, v9, vcc
	v_add_co_u32_e32 v8, vcc, v6, v8
	v_addc_co_u32_e32 v9, vcc, 0, v7, vcc
	v_mul_lo_u32 v12, s21, v8
	v_mul_lo_u32 v13, s20, v9
	v_mad_u64_u32 v[6:7], s[0:1], s20, v8, 0
	v_xor_b32_e32 v4, s6, v4
	v_add3_u32 v7, v7, v13, v12
	v_sub_u32_e32 v12, v11, v7
	v_mov_b32_e32 v13, s21
	v_sub_co_u32_e32 v6, vcc, v10, v6
	v_subb_co_u32_e64 v10, s[0:1], v12, v13, vcc
	v_subrev_co_u32_e64 v12, s[0:1], s20, v6
	v_subbrev_co_u32_e64 v10, s[0:1], 0, v10, s[0:1]
	v_cmp_le_u32_e64 s[0:1], s21, v10
	v_cndmask_b32_e64 v13, 0, -1, s[0:1]
	v_cmp_le_u32_e64 s[0:1], s20, v12
	v_cndmask_b32_e64 v12, 0, -1, s[0:1]
	v_cmp_eq_u32_e64 s[0:1], s21, v10
	v_cndmask_b32_e64 v10, v13, v12, s[0:1]
	v_add_co_u32_e64 v12, s[0:1], 2, v8
	v_subb_co_u32_e32 v7, vcc, v11, v7, vcc
	v_addc_co_u32_e64 v13, s[0:1], 0, v9, s[0:1]
	v_cmp_le_u32_e32 vcc, s21, v7
	v_add_co_u32_e64 v14, s[0:1], 1, v8
	v_cndmask_b32_e64 v11, 0, -1, vcc
	v_cmp_le_u32_e32 vcc, s20, v6
	v_addc_co_u32_e64 v15, s[0:1], 0, v9, s[0:1]
	v_cndmask_b32_e64 v6, 0, -1, vcc
	v_cmp_eq_u32_e32 vcc, s21, v7
	v_cmp_ne_u32_e64 s[0:1], 0, v10
	v_cndmask_b32_e32 v6, v11, v6, vcc
	v_cmp_ne_u32_e32 vcc, 0, v6
	v_cndmask_b32_e64 v7, v14, v12, s[0:1]
	v_cndmask_b32_e64 v10, v15, v13, s[0:1]
	v_cndmask_b32_e32 v7, v8, v7, vcc
	v_cndmask_b32_e32 v6, v9, v10, vcc
	v_xor_b32_e32 v7, v7, v4
	v_xor_b32_e32 v6, v6, v4
	v_sub_co_u32_e32 v8, vcc, v7, v4
	v_subb_co_u32_e32 v9, vcc, v6, v4, vcc
.LBB12_24:
	s_andn2_saveexec_b64 s[0:1], s[2:3]
	s_cbranch_execz .LBB12_26
; %bb.25:
	v_cvt_f32_u32_e32 v4, s23
	s_sub_i32 s2, 0, s23
	v_mov_b32_e32 v9, 0
	v_rcp_iflag_f32_e32 v4, v4
	v_mul_f32_e32 v4, 0x4f7ffffe, v4
	v_cvt_u32_f32_e32 v4, v4
	v_mul_lo_u32 v6, s2, v4
	v_mul_hi_u32 v6, v4, v6
	v_add_u32_e32 v4, v4, v6
	v_mul_hi_u32 v4, v0, v4
	v_mul_lo_u32 v6, v4, s23
	v_add_u32_e32 v7, 1, v4
	v_sub_u32_e32 v6, v0, v6
	v_subrev_u32_e32 v8, s23, v6
	v_cmp_le_u32_e32 vcc, s23, v6
	v_cndmask_b32_e32 v6, v6, v8, vcc
	v_cndmask_b32_e32 v4, v4, v7, vcc
	v_add_u32_e32 v7, 1, v4
	v_cmp_le_u32_e32 vcc, s23, v6
	v_cndmask_b32_e32 v8, v4, v7, vcc
.LBB12_26:
	s_or_b64 exec, exec, s[0:1]
	v_or_b32_e32 v7, s13, v9
	v_mov_b32_e32 v6, 0
	v_cmp_ne_u64_e32 vcc, 0, v[6:7]
                                        ; implicit-def: $vgpr6_vgpr7
	s_and_saveexec_b64 s[0:1], vcc
	s_xor_b64 s[2:3], exec, s[0:1]
	s_cbranch_execz .LBB12_28
; %bb.27:
	v_cvt_f32_u32_e32 v4, s12
	v_cvt_f32_u32_e32 v6, s13
	s_sub_u32 s6, 0, s12
	s_subb_u32 s7, 0, s13
	v_madmk_f32 v4, v6, 0x4f800000, v4
	v_rcp_f32_e32 v4, v4
	v_mul_f32_e32 v4, 0x5f7ffffc, v4
	v_mul_f32_e32 v6, 0x2f800000, v4
	v_trunc_f32_e32 v6, v6
	v_madmk_f32 v4, v6, 0xcf800000, v4
	v_cvt_u32_f32_e32 v6, v6
	v_cvt_u32_f32_e32 v4, v4
	v_readfirstlane_b32 s20, v6
	v_readfirstlane_b32 s0, v4
	s_mul_i32 s1, s6, s20
	s_mul_hi_u32 s25, s6, s0
	s_mul_i32 s21, s7, s0
	s_add_i32 s1, s25, s1
	s_mul_i32 s28, s6, s0
	s_add_i32 s1, s1, s21
	s_mul_i32 s25, s0, s1
	s_mul_hi_u32 s29, s0, s28
	s_mul_hi_u32 s21, s0, s1
	s_add_u32 s25, s29, s25
	s_addc_u32 s21, 0, s21
	s_mul_hi_u32 s30, s20, s28
	s_mul_i32 s28, s20, s28
	s_add_u32 s25, s25, s28
	s_mul_hi_u32 s29, s20, s1
	s_addc_u32 s21, s21, s30
	s_addc_u32 s25, s29, 0
	s_mul_i32 s1, s20, s1
	s_add_u32 s1, s21, s1
	s_addc_u32 s21, 0, s25
	s_add_u32 s25, s0, s1
	s_cselect_b64 s[0:1], -1, 0
	s_cmp_lg_u64 s[0:1], 0
	s_addc_u32 s20, s20, s21
	s_mul_i32 s0, s6, s20
	s_mul_hi_u32 s1, s6, s25
	s_add_i32 s0, s1, s0
	s_mul_i32 s7, s7, s25
	s_add_i32 s0, s0, s7
	s_mul_i32 s6, s6, s25
	s_mul_hi_u32 s7, s20, s6
	s_mul_i32 s21, s20, s6
	s_mul_i32 s29, s25, s0
	s_mul_hi_u32 s6, s25, s6
	s_mul_hi_u32 s28, s25, s0
	s_add_u32 s6, s6, s29
	s_addc_u32 s28, 0, s28
	s_add_u32 s6, s6, s21
	s_mul_hi_u32 s1, s20, s0
	s_addc_u32 s6, s28, s7
	s_addc_u32 s1, s1, 0
	s_mul_i32 s0, s20, s0
	s_add_u32 s0, s6, s0
	s_addc_u32 s6, 0, s1
	s_add_u32 s7, s25, s0
	s_cselect_b64 s[0:1], -1, 0
	s_cmp_lg_u64 s[0:1], 0
	s_addc_u32 s6, s20, s6
	v_mad_u64_u32 v[6:7], s[0:1], v8, s6, 0
	v_mul_hi_u32 v4, v8, s7
	v_mad_u64_u32 v[10:11], s[0:1], v9, s6, 0
	v_add_co_u32_e32 v4, vcc, v4, v6
	v_addc_co_u32_e32 v12, vcc, 0, v7, vcc
	v_mad_u64_u32 v[6:7], s[0:1], v9, s7, 0
	v_add_co_u32_e32 v4, vcc, v4, v6
	v_addc_co_u32_e32 v4, vcc, v12, v7, vcc
	v_addc_co_u32_e32 v6, vcc, 0, v11, vcc
	v_add_co_u32_e32 v4, vcc, v4, v10
	v_addc_co_u32_e32 v6, vcc, 0, v6, vcc
	v_mul_lo_u32 v10, s13, v4
	v_mul_lo_u32 v11, s12, v6
	v_mad_u64_u32 v[6:7], s[0:1], s12, v4, 0
	v_add3_u32 v4, v7, v11, v10
	v_sub_u32_e32 v7, v9, v4
	v_mov_b32_e32 v10, s13
	v_sub_co_u32_e32 v6, vcc, v8, v6
	v_subb_co_u32_e64 v7, s[0:1], v7, v10, vcc
	v_subrev_co_u32_e64 v8, s[0:1], s12, v6
	v_subbrev_co_u32_e64 v7, s[0:1], 0, v7, s[0:1]
	v_cmp_le_u32_e64 s[0:1], s13, v7
	v_subb_co_u32_e32 v4, vcc, v9, v4, vcc
	v_cndmask_b32_e64 v10, 0, -1, s[0:1]
	v_cmp_le_u32_e64 s[0:1], s12, v8
	v_cmp_le_u32_e32 vcc, s13, v4
	v_cndmask_b32_e64 v11, 0, -1, s[0:1]
	v_cmp_eq_u32_e64 s[0:1], s13, v7
	v_cndmask_b32_e64 v9, 0, -1, vcc
	v_cmp_le_u32_e32 vcc, s12, v6
	v_cndmask_b32_e64 v7, v10, v11, s[0:1]
	v_cndmask_b32_e64 v11, 0, -1, vcc
	v_cmp_eq_u32_e32 vcc, s13, v4
	v_subrev_co_u32_e64 v10, s[0:1], s12, v8
	v_cndmask_b32_e32 v4, v9, v11, vcc
	v_cmp_ne_u32_e32 vcc, 0, v7
	v_cndmask_b32_e32 v7, v8, v10, vcc
	v_cmp_ne_u32_e32 vcc, 0, v4
	v_cndmask_b32_e32 v6, v6, v7, vcc
                                        ; implicit-def: $vgpr8_vgpr9
.LBB12_28:
	s_andn2_saveexec_b64 s[0:1], s[2:3]
	s_cbranch_execz .LBB12_30
; %bb.29:
	v_cvt_f32_u32_e32 v4, s12
	s_sub_i32 s2, 0, s12
	v_rcp_iflag_f32_e32 v4, v4
	v_mul_f32_e32 v4, 0x4f7ffffe, v4
	v_cvt_u32_f32_e32 v4, v4
	v_mul_lo_u32 v6, s2, v4
	v_mul_hi_u32 v6, v4, v6
	v_add_u32_e32 v4, v4, v6
	v_mul_hi_u32 v4, v8, v4
	v_mul_lo_u32 v4, v4, s12
	v_sub_u32_e32 v4, v8, v4
	v_subrev_u32_e32 v6, s12, v4
	v_cmp_le_u32_e32 vcc, s12, v4
	v_cndmask_b32_e32 v4, v4, v6, vcc
	v_subrev_u32_e32 v6, s12, v4
	v_cmp_le_u32_e32 vcc, s12, v4
	v_cndmask_b32_e32 v6, v4, v6, vcc
.LBB12_30:
	s_or_b64 exec, exec, s[0:1]
	v_mul_lo_u32 v3, v3, s24
	s_mul_i32 s0, s18, s17
	s_mul_hi_u32 s1, s18, s16
	s_add_i32 s0, s1, s0
	s_mul_i32 s1, s19, s16
	s_add_i32 s30, s0, s1
	s_load_dwordx4 s[0:3], s[4:5], 0x50
	v_sub_u32_e32 v3, v0, v3
	v_cvt_f32_i32_e32 v8, v3
	v_cvt_f32_i32_e32 v4, v5
	v_add_u32_e32 v5, 1, v5
	v_add_u32_e32 v3, 1, v3
	s_waitcnt lgkmcnt(0)
	v_mul_f32_e32 v8, s2, v8
	v_ceil_f32_e32 v8, v8
	v_cvt_i32_f32_e32 v12, v8
	v_cvt_f32_i32_e32 v8, v2
	v_add_u32_e32 v2, 1, v2
	v_cvt_f32_i32_e32 v5, v5
	v_cvt_f32_i32_e32 v3, v3
	v_cvt_f32_i32_e32 v2, v2
	v_mul_f32_e32 v4, s1, v4
	v_ceil_f32_e32 v4, v4
	v_cvt_i32_f32_e32 v7, v4
	v_mul_f32_e32 v4, s1, v5
	v_mul_f32_e32 v3, s2, v3
	;; [unrolled: 1-line block ×3, first 2 shown]
	v_ceil_f32_e32 v4, v4
	v_ceil_f32_e32 v3, v3
	v_mul_f32_e32 v8, s0, v8
	v_ceil_f32_e32 v2, v2
	v_cvt_i32_f32_e32 v5, v4
	v_cvt_i32_f32_e32 v3, v3
	v_ceil_f32_e32 v8, v8
	v_cvt_i32_f32_e32 v2, v2
	v_cvt_i32_f32_e32 v13, v8
	s_mul_i32 s31, s18, s16
	s_mul_i32 s0, s31, s15
	s_mul_hi_u32 s1, s31, s14
	s_mul_i32 s6, s23, s13
	s_mul_hi_u32 s7, s23, s12
	v_min_i32_e32 v5, s16, v5
	v_min_i32_e32 v9, s18, v3
	;; [unrolled: 1-line block ×3, first 2 shown]
	s_add_i32 s0, s1, s0
	s_mul_i32 s1, s30, s14
	s_add_i32 s6, s7, s6
	s_mul_i32 s7, s22, s12
	v_min_i32_e32 v4, s16, v7
	v_min_i32_e32 v8, s18, v12
	;; [unrolled: 1-line block ×3, first 2 shown]
	s_add_i32 s33, s0, s1
	s_mul_i32 s34, s31, s14
	v_cmp_gt_i32_e64 s[0:1], v11, v13
	v_cmp_gt_i32_e64 s[2:3], v5, v7
	;; [unrolled: 1-line block ×3, first 2 shown]
	v_ashrrev_i32_e32 v7, 31, v6
	s_add_i32 s35, s6, s7
	s_mul_i32 s36, s23, s12
	s_mov_b64 s[14:15], 0
	s_branch .LBB12_33
.LBB12_31:                              ;   in Loop: Header=BB12_33 Depth=1
	s_or_b64 exec, exec, s[16:17]
	v_cvt_f16_f32_e32 v2, v12
.LBB12_32:                              ;   in Loop: Header=BB12_33 Depth=1
	s_or_b64 exec, exec, s[6:7]
	v_lshlrev_b64 v[12:13], 1, v[0:1]
	v_mov_b32_e32 v3, s27
	v_add_co_u32_e32 v12, vcc, s26, v12
	v_addc_co_u32_e32 v13, vcc, v3, v13, vcc
	s_add_u32 s14, s14, 1
	global_store_short v[12:13], v2, off
	s_addc_u32 s15, s15, 0
	v_mov_b32_e32 v2, s14
	v_mov_b32_e32 v3, s15
	v_cmp_le_u64_e32 vcc, s[10:11], v[2:3]
	v_mov_b32_e32 v12, s35
	v_add_co_u32_e64 v0, s[6:7], s36, v0
	v_addc_co_u32_e64 v1, s[6:7], v1, v12, s[6:7]
	s_cbranch_vccnz .LBB12_44
.LBB12_33:                              ; =>This Loop Header: Depth=1
                                        ;     Child Loop BB12_37 Depth 2
                                        ;       Child Loop BB12_40 Depth 3
                                        ;         Child Loop BB12_42 Depth 4
	v_mov_b32_e32 v2, 0
	s_and_saveexec_b64 s[6:7], s[0:1]
	s_cbranch_execz .LBB12_32
; %bb.34:                               ;   in Loop: Header=BB12_33 Depth=1
	v_mov_b32_e32 v2, s12
	v_mad_u64_u32 v[2:3], s[16:17], s14, v2, v[6:7]
	s_mul_i32 s16, s15, s12
	s_mul_i32 s17, s14, s13
	s_add_i32 s17, s17, s16
	v_add_u32_e32 v3, s17, v3
	v_mul_lo_u32 v12, s34, v3
	v_mul_lo_u32 v13, s33, v2
	v_mad_u64_u32 v[2:3], s[16:17], s34, v2, 0
	s_mov_b64 s[16:17], 0
	v_mov_b32_e32 v15, v10
	v_add3_u32 v3, v3, v12, v13
	v_lshlrev_b64 v[2:3], 1, v[2:3]
	v_mov_b32_e32 v12, s9
	v_add_co_u32_e32 v13, vcc, s8, v2
	v_addc_co_u32_e32 v14, vcc, v12, v3, vcc
	v_mov_b32_e32 v12, 0
	s_branch .LBB12_37
.LBB12_35:                              ;   in Loop: Header=BB12_37 Depth=2
	s_or_b64 exec, exec, s[22:23]
.LBB12_36:                              ;   in Loop: Header=BB12_37 Depth=2
	s_or_b64 exec, exec, s[20:21]
	v_add_u32_e32 v15, 1, v15
	v_cmp_ge_i32_e32 vcc, v15, v11
	s_or_b64 s[16:17], vcc, s[16:17]
	s_andn2_b64 exec, exec, s[16:17]
	s_cbranch_execz .LBB12_31
.LBB12_37:                              ;   Parent Loop BB12_33 Depth=1
                                        ; =>  This Loop Header: Depth=2
                                        ;       Child Loop BB12_40 Depth 3
                                        ;         Child Loop BB12_42 Depth 4
	s_and_saveexec_b64 s[20:21], s[2:3]
	s_cbranch_execz .LBB12_36
; %bb.38:                               ;   in Loop: Header=BB12_37 Depth=2
	v_ashrrev_i32_e32 v16, 31, v15
	v_mul_lo_u32 v17, s30, v15
	v_mad_u64_u32 v[2:3], s[22:23], s31, v15, 0
	v_mul_lo_u32 v16, s31, v16
	s_mov_b64 s[22:23], 0
	v_mov_b32_e32 v18, v4
	v_add3_u32 v3, v3, v16, v17
	v_lshlrev_b64 v[2:3], 1, v[2:3]
	v_add_co_u32_e32 v16, vcc, v13, v2
	v_addc_co_u32_e32 v17, vcc, v14, v3, vcc
	s_branch .LBB12_40
.LBB12_39:                              ;   in Loop: Header=BB12_40 Depth=3
	s_or_b64 exec, exec, s[24:25]
	v_add_u32_e32 v18, 1, v18
	v_cmp_ge_i32_e32 vcc, v18, v5
	s_or_b64 s[22:23], vcc, s[22:23]
	s_andn2_b64 exec, exec, s[22:23]
	s_cbranch_execz .LBB12_35
.LBB12_40:                              ;   Parent Loop BB12_33 Depth=1
                                        ;     Parent Loop BB12_37 Depth=2
                                        ; =>    This Loop Header: Depth=3
                                        ;         Child Loop BB12_42 Depth 4
	s_and_saveexec_b64 s[24:25], s[4:5]
	s_cbranch_execz .LBB12_39
; %bb.41:                               ;   in Loop: Header=BB12_40 Depth=3
	v_ashrrev_i32_e32 v19, 31, v18
	v_mul_lo_u32 v20, s19, v18
	v_mad_u64_u32 v[2:3], s[28:29], s18, v18, 0
	v_mul_lo_u32 v19, s18, v19
	s_mov_b64 s[28:29], 0
	v_add3_u32 v3, v3, v19, v20
	v_lshlrev_b64 v[2:3], 1, v[2:3]
	v_add_co_u32_e32 v19, vcc, v16, v2
	v_addc_co_u32_e32 v20, vcc, v17, v3, vcc
	v_mov_b32_e32 v2, v8
.LBB12_42:                              ;   Parent Loop BB12_33 Depth=1
                                        ;     Parent Loop BB12_37 Depth=2
                                        ;       Parent Loop BB12_40 Depth=3
                                        ; =>      This Inner Loop Header: Depth=4
	v_ashrrev_i32_e32 v3, 31, v2
	v_lshlrev_b64 v[21:22], 1, v[2:3]
	v_add_u32_e32 v2, 1, v2
	v_add_co_u32_e32 v21, vcc, v19, v21
	v_addc_co_u32_e32 v22, vcc, v20, v22, vcc
	global_load_ushort v3, v[21:22], off
	v_cmp_ge_i32_e32 vcc, v2, v9
	s_or_b64 s[28:29], vcc, s[28:29]
	s_waitcnt vmcnt(0)
	v_cvt_f32_f16_e32 v3, v3
	v_add_f32_e32 v12, v12, v3
	s_andn2_b64 exec, exec, s[28:29]
	s_cbranch_execnz .LBB12_42
; %bb.43:                               ;   in Loop: Header=BB12_40 Depth=3
	s_or_b64 exec, exec, s[28:29]
	s_branch .LBB12_39
.LBB12_44:
	s_endpgm
	.section	.rodata,"a",@progbits
	.p2align	6, 0x0
	.amdhsa_kernel _ZN2at6native12_GLOBAL__N_137upsample_nearest3d_backward_out_frameIN3c104HalfEfXadL_ZNS0_40nearest_neighbor_bw_compute_source_indexEfiiEEEEvPKT_mmmmmmmmPS5_fff
		.amdhsa_group_segment_fixed_size 0
		.amdhsa_private_segment_fixed_size 0
		.amdhsa_kernarg_size 352
		.amdhsa_user_sgpr_count 6
		.amdhsa_user_sgpr_private_segment_buffer 1
		.amdhsa_user_sgpr_dispatch_ptr 0
		.amdhsa_user_sgpr_queue_ptr 0
		.amdhsa_user_sgpr_kernarg_segment_ptr 1
		.amdhsa_user_sgpr_dispatch_id 0
		.amdhsa_user_sgpr_flat_scratch_init 0
		.amdhsa_user_sgpr_private_segment_size 0
		.amdhsa_uses_dynamic_stack 0
		.amdhsa_system_sgpr_private_segment_wavefront_offset 0
		.amdhsa_system_sgpr_workgroup_id_x 1
		.amdhsa_system_sgpr_workgroup_id_y 0
		.amdhsa_system_sgpr_workgroup_id_z 0
		.amdhsa_system_sgpr_workgroup_info 0
		.amdhsa_system_vgpr_workitem_id 0
		.amdhsa_next_free_vgpr 23
		.amdhsa_next_free_sgpr 37
		.amdhsa_reserve_vcc 1
		.amdhsa_reserve_flat_scratch 0
		.amdhsa_float_round_mode_32 0
		.amdhsa_float_round_mode_16_64 0
		.amdhsa_float_denorm_mode_32 3
		.amdhsa_float_denorm_mode_16_64 3
		.amdhsa_dx10_clamp 1
		.amdhsa_ieee_mode 1
		.amdhsa_fp16_overflow 0
		.amdhsa_exception_fp_ieee_invalid_op 0
		.amdhsa_exception_fp_denorm_src 0
		.amdhsa_exception_fp_ieee_div_zero 0
		.amdhsa_exception_fp_ieee_overflow 0
		.amdhsa_exception_fp_ieee_underflow 0
		.amdhsa_exception_fp_ieee_inexact 0
		.amdhsa_exception_int_div_zero 0
	.end_amdhsa_kernel
	.section	.text._ZN2at6native12_GLOBAL__N_137upsample_nearest3d_backward_out_frameIN3c104HalfEfXadL_ZNS0_40nearest_neighbor_bw_compute_source_indexEfiiEEEEvPKT_mmmmmmmmPS5_fff,"axG",@progbits,_ZN2at6native12_GLOBAL__N_137upsample_nearest3d_backward_out_frameIN3c104HalfEfXadL_ZNS0_40nearest_neighbor_bw_compute_source_indexEfiiEEEEvPKT_mmmmmmmmPS5_fff,comdat
.Lfunc_end12:
	.size	_ZN2at6native12_GLOBAL__N_137upsample_nearest3d_backward_out_frameIN3c104HalfEfXadL_ZNS0_40nearest_neighbor_bw_compute_source_indexEfiiEEEEvPKT_mmmmmmmmPS5_fff, .Lfunc_end12-_ZN2at6native12_GLOBAL__N_137upsample_nearest3d_backward_out_frameIN3c104HalfEfXadL_ZNS0_40nearest_neighbor_bw_compute_source_indexEfiiEEEEvPKT_mmmmmmmmPS5_fff
                                        ; -- End function
	.set _ZN2at6native12_GLOBAL__N_137upsample_nearest3d_backward_out_frameIN3c104HalfEfXadL_ZNS0_40nearest_neighbor_bw_compute_source_indexEfiiEEEEvPKT_mmmmmmmmPS5_fff.num_vgpr, 23
	.set _ZN2at6native12_GLOBAL__N_137upsample_nearest3d_backward_out_frameIN3c104HalfEfXadL_ZNS0_40nearest_neighbor_bw_compute_source_indexEfiiEEEEvPKT_mmmmmmmmPS5_fff.num_agpr, 0
	.set _ZN2at6native12_GLOBAL__N_137upsample_nearest3d_backward_out_frameIN3c104HalfEfXadL_ZNS0_40nearest_neighbor_bw_compute_source_indexEfiiEEEEvPKT_mmmmmmmmPS5_fff.numbered_sgpr, 37
	.set _ZN2at6native12_GLOBAL__N_137upsample_nearest3d_backward_out_frameIN3c104HalfEfXadL_ZNS0_40nearest_neighbor_bw_compute_source_indexEfiiEEEEvPKT_mmmmmmmmPS5_fff.num_named_barrier, 0
	.set _ZN2at6native12_GLOBAL__N_137upsample_nearest3d_backward_out_frameIN3c104HalfEfXadL_ZNS0_40nearest_neighbor_bw_compute_source_indexEfiiEEEEvPKT_mmmmmmmmPS5_fff.private_seg_size, 0
	.set _ZN2at6native12_GLOBAL__N_137upsample_nearest3d_backward_out_frameIN3c104HalfEfXadL_ZNS0_40nearest_neighbor_bw_compute_source_indexEfiiEEEEvPKT_mmmmmmmmPS5_fff.uses_vcc, 1
	.set _ZN2at6native12_GLOBAL__N_137upsample_nearest3d_backward_out_frameIN3c104HalfEfXadL_ZNS0_40nearest_neighbor_bw_compute_source_indexEfiiEEEEvPKT_mmmmmmmmPS5_fff.uses_flat_scratch, 0
	.set _ZN2at6native12_GLOBAL__N_137upsample_nearest3d_backward_out_frameIN3c104HalfEfXadL_ZNS0_40nearest_neighbor_bw_compute_source_indexEfiiEEEEvPKT_mmmmmmmmPS5_fff.has_dyn_sized_stack, 0
	.set _ZN2at6native12_GLOBAL__N_137upsample_nearest3d_backward_out_frameIN3c104HalfEfXadL_ZNS0_40nearest_neighbor_bw_compute_source_indexEfiiEEEEvPKT_mmmmmmmmPS5_fff.has_recursion, 0
	.set _ZN2at6native12_GLOBAL__N_137upsample_nearest3d_backward_out_frameIN3c104HalfEfXadL_ZNS0_40nearest_neighbor_bw_compute_source_indexEfiiEEEEvPKT_mmmmmmmmPS5_fff.has_indirect_call, 0
	.section	.AMDGPU.csdata,"",@progbits
; Kernel info:
; codeLenInByte = 5620
; TotalNumSgprs: 41
; NumVgprs: 23
; ScratchSize: 0
; MemoryBound: 0
; FloatMode: 240
; IeeeMode: 1
; LDSByteSize: 0 bytes/workgroup (compile time only)
; SGPRBlocks: 5
; VGPRBlocks: 5
; NumSGPRsForWavesPerEU: 41
; NumVGPRsForWavesPerEU: 23
; Occupancy: 10
; WaveLimiterHint : 0
; COMPUTE_PGM_RSRC2:SCRATCH_EN: 0
; COMPUTE_PGM_RSRC2:USER_SGPR: 6
; COMPUTE_PGM_RSRC2:TRAP_HANDLER: 0
; COMPUTE_PGM_RSRC2:TGID_X_EN: 1
; COMPUTE_PGM_RSRC2:TGID_Y_EN: 0
; COMPUTE_PGM_RSRC2:TGID_Z_EN: 0
; COMPUTE_PGM_RSRC2:TIDIG_COMP_CNT: 0
	.section	.text._ZN2at6native12_GLOBAL__N_137upsample_nearest3d_backward_out_frameIN3c108BFloat16EfXadL_ZNS0_40nearest_neighbor_bw_compute_source_indexEfiiEEEEvPKT_mmmmmmmmPS5_fff,"axG",@progbits,_ZN2at6native12_GLOBAL__N_137upsample_nearest3d_backward_out_frameIN3c108BFloat16EfXadL_ZNS0_40nearest_neighbor_bw_compute_source_indexEfiiEEEEvPKT_mmmmmmmmPS5_fff,comdat
	.globl	_ZN2at6native12_GLOBAL__N_137upsample_nearest3d_backward_out_frameIN3c108BFloat16EfXadL_ZNS0_40nearest_neighbor_bw_compute_source_indexEfiiEEEEvPKT_mmmmmmmmPS5_fff ; -- Begin function _ZN2at6native12_GLOBAL__N_137upsample_nearest3d_backward_out_frameIN3c108BFloat16EfXadL_ZNS0_40nearest_neighbor_bw_compute_source_indexEfiiEEEEvPKT_mmmmmmmmPS5_fff
	.p2align	8
	.type	_ZN2at6native12_GLOBAL__N_137upsample_nearest3d_backward_out_frameIN3c108BFloat16EfXadL_ZNS0_40nearest_neighbor_bw_compute_source_indexEfiiEEEEvPKT_mmmmmmmmPS5_fff,@function
_ZN2at6native12_GLOBAL__N_137upsample_nearest3d_backward_out_frameIN3c108BFloat16EfXadL_ZNS0_40nearest_neighbor_bw_compute_source_indexEfiiEEEEvPKT_mmmmmmmmPS5_fff: ; @_ZN2at6native12_GLOBAL__N_137upsample_nearest3d_backward_out_frameIN3c108BFloat16EfXadL_ZNS0_40nearest_neighbor_bw_compute_source_indexEfiiEEEEvPKT_mmmmmmmmPS5_fff
; %bb.0:
	s_load_dword s0, s[4:5], 0x6c
	s_load_dwordx4 s[24:27], s[4:5], 0x40
	s_load_dwordx16 s[8:23], s[4:5], 0x0
	v_mov_b32_e32 v2, 0
	v_mov_b32_e32 v1, v2
	s_waitcnt lgkmcnt(0)
	s_and_b32 s0, s0, 0xffff
	v_mov_b32_e32 v3, s6
	v_mad_u64_u32 v[0:1], s[0:1], s0, v3, v[0:1]
	s_mul_i32 s0, s22, s21
	s_mul_hi_u32 s1, s22, s20
	s_add_i32 s7, s1, s0
	s_mul_i32 s0, s23, s20
	s_mul_i32 s6, s22, s20
	s_add_i32 s7, s7, s0
	s_mul_i32 s0, s6, s13
	s_mul_hi_u32 s1, s6, s12
	s_add_i32 s0, s1, s0
	s_mul_i32 s1, s7, s12
	s_mul_i32 s2, s6, s12
	s_add_i32 s0, s0, s1
	s_mul_i32 s1, s2, s25
	s_mul_hi_u32 s3, s2, s24
	s_mul_i32 s0, s0, s24
	s_add_i32 s1, s3, s1
	s_add_i32 s1, s1, s0
	s_mul_i32 s0, s2, s24
	v_cmp_gt_u64_e32 vcc, s[0:1], v[0:1]
	s_and_saveexec_b64 s[0:1], vcc
	s_cbranch_execz .LBB13_44
; %bb.1:
	v_or_b32_e32 v3, s23, v1
	v_cmp_ne_u64_e32 vcc, 0, v[2:3]
                                        ; implicit-def: $vgpr2_vgpr3
	s_and_saveexec_b64 s[0:1], vcc
	s_xor_b64 s[2:3], exec, s[0:1]
	s_cbranch_execz .LBB13_3
; %bb.2:
	v_cvt_f32_u32_e32 v2, s22
	v_cvt_f32_u32_e32 v3, s23
	s_sub_u32 s28, 0, s22
	s_subb_u32 s29, 0, s23
	v_madmk_f32 v2, v3, 0x4f800000, v2
	v_rcp_f32_e32 v2, v2
	v_mul_f32_e32 v2, 0x5f7ffffc, v2
	v_mul_f32_e32 v3, 0x2f800000, v2
	v_trunc_f32_e32 v3, v3
	v_madmk_f32 v2, v3, 0xcf800000, v2
	v_cvt_u32_f32_e32 v3, v3
	v_cvt_u32_f32_e32 v2, v2
	v_readfirstlane_b32 s30, v3
	v_readfirstlane_b32 s0, v2
	s_mul_i32 s1, s28, s30
	s_mul_hi_u32 s33, s28, s0
	s_mul_i32 s31, s29, s0
	s_add_i32 s1, s33, s1
	s_mul_i32 s34, s28, s0
	s_add_i32 s1, s1, s31
	s_mul_i32 s33, s0, s1
	s_mul_hi_u32 s35, s0, s34
	s_mul_hi_u32 s31, s0, s1
	s_add_u32 s33, s35, s33
	s_addc_u32 s31, 0, s31
	s_mul_hi_u32 s36, s30, s34
	s_mul_i32 s34, s30, s34
	s_add_u32 s33, s33, s34
	s_mul_hi_u32 s35, s30, s1
	s_addc_u32 s31, s31, s36
	s_addc_u32 s33, s35, 0
	s_mul_i32 s1, s30, s1
	s_add_u32 s1, s31, s1
	s_addc_u32 s31, 0, s33
	s_add_u32 s33, s0, s1
	s_cselect_b64 s[0:1], -1, 0
	s_cmp_lg_u64 s[0:1], 0
	s_addc_u32 s30, s30, s31
	s_mul_i32 s0, s28, s30
	s_mul_hi_u32 s1, s28, s33
	s_add_i32 s0, s1, s0
	s_mul_i32 s29, s29, s33
	s_add_i32 s0, s0, s29
	s_mul_i32 s28, s28, s33
	s_mul_hi_u32 s29, s30, s28
	s_mul_i32 s31, s30, s28
	s_mul_i32 s35, s33, s0
	s_mul_hi_u32 s28, s33, s28
	s_mul_hi_u32 s34, s33, s0
	s_add_u32 s28, s28, s35
	s_addc_u32 s34, 0, s34
	s_add_u32 s28, s28, s31
	s_mul_hi_u32 s1, s30, s0
	s_addc_u32 s28, s34, s29
	s_addc_u32 s1, s1, 0
	s_mul_i32 s0, s30, s0
	s_add_u32 s0, s28, s0
	s_addc_u32 s28, 0, s1
	s_add_u32 s29, s33, s0
	s_cselect_b64 s[0:1], -1, 0
	s_cmp_lg_u64 s[0:1], 0
	s_addc_u32 s28, s30, s28
	v_mad_u64_u32 v[2:3], s[0:1], v0, s28, 0
	v_mul_hi_u32 v4, v0, s29
	v_add_co_u32_e32 v6, vcc, v4, v2
	v_addc_co_u32_e32 v7, vcc, 0, v3, vcc
	v_mad_u64_u32 v[2:3], s[0:1], v1, s29, 0
	v_mad_u64_u32 v[4:5], s[0:1], v1, s28, 0
	v_add_co_u32_e32 v2, vcc, v6, v2
	v_addc_co_u32_e32 v2, vcc, v7, v3, vcc
	v_addc_co_u32_e32 v3, vcc, 0, v5, vcc
	v_add_co_u32_e32 v4, vcc, v2, v4
	v_addc_co_u32_e32 v5, vcc, 0, v3, vcc
	v_mul_lo_u32 v6, s23, v4
	v_mul_lo_u32 v7, s22, v5
	v_mad_u64_u32 v[2:3], s[0:1], s22, v4, 0
	v_add3_u32 v3, v3, v7, v6
	v_sub_u32_e32 v6, v1, v3
	v_mov_b32_e32 v7, s23
	v_sub_co_u32_e32 v2, vcc, v0, v2
	v_subb_co_u32_e64 v6, s[0:1], v6, v7, vcc
	v_subrev_co_u32_e64 v7, s[0:1], s22, v2
	v_subbrev_co_u32_e64 v6, s[0:1], 0, v6, s[0:1]
	v_cmp_le_u32_e64 s[0:1], s23, v6
	v_cndmask_b32_e64 v8, 0, -1, s[0:1]
	v_cmp_le_u32_e64 s[0:1], s22, v7
	v_cndmask_b32_e64 v7, 0, -1, s[0:1]
	v_cmp_eq_u32_e64 s[0:1], s23, v6
	v_cndmask_b32_e64 v6, v8, v7, s[0:1]
	v_add_co_u32_e64 v7, s[0:1], 2, v4
	v_addc_co_u32_e64 v8, s[0:1], 0, v5, s[0:1]
	v_add_co_u32_e64 v9, s[0:1], 1, v4
	v_addc_co_u32_e64 v10, s[0:1], 0, v5, s[0:1]
	v_subb_co_u32_e32 v3, vcc, v1, v3, vcc
	v_cmp_ne_u32_e64 s[0:1], 0, v6
	v_cmp_le_u32_e32 vcc, s23, v3
	v_cndmask_b32_e64 v6, v10, v8, s[0:1]
	v_cndmask_b32_e64 v8, 0, -1, vcc
	v_cmp_le_u32_e32 vcc, s22, v2
	v_cndmask_b32_e64 v2, 0, -1, vcc
	v_cmp_eq_u32_e32 vcc, s23, v3
	v_cndmask_b32_e32 v2, v8, v2, vcc
	v_cmp_ne_u32_e32 vcc, 0, v2
	v_cndmask_b32_e64 v2, v9, v7, s[0:1]
	v_cndmask_b32_e32 v3, v5, v6, vcc
	v_cndmask_b32_e32 v2, v4, v2, vcc
.LBB13_3:
	s_andn2_saveexec_b64 s[0:1], s[2:3]
	s_cbranch_execz .LBB13_5
; %bb.4:
	v_cvt_f32_u32_e32 v2, s22
	s_sub_i32 s2, 0, s22
	v_rcp_iflag_f32_e32 v2, v2
	v_mul_f32_e32 v2, 0x4f7ffffe, v2
	v_cvt_u32_f32_e32 v2, v2
	v_mul_lo_u32 v3, s2, v2
	v_mul_hi_u32 v3, v2, v3
	v_add_u32_e32 v2, v2, v3
	v_mul_hi_u32 v2, v0, v2
	v_mul_lo_u32 v3, v2, s22
	v_add_u32_e32 v4, 1, v2
	v_sub_u32_e32 v3, v0, v3
	v_subrev_u32_e32 v5, s22, v3
	v_cmp_le_u32_e32 vcc, s22, v3
	v_cndmask_b32_e32 v3, v3, v5, vcc
	v_cndmask_b32_e32 v2, v2, v4, vcc
	v_add_u32_e32 v4, 1, v2
	v_cmp_le_u32_e32 vcc, s22, v3
	v_cndmask_b32_e32 v2, v2, v4, vcc
	v_mov_b32_e32 v3, 0
.LBB13_5:
	s_or_b64 exec, exec, s[0:1]
	v_or_b32_e32 v5, s25, v3
	v_mov_b32_e32 v4, 0
	v_cmp_ne_u64_e32 vcc, 0, v[4:5]
                                        ; implicit-def: $vgpr4_vgpr5
	s_and_saveexec_b64 s[0:1], vcc
	s_xor_b64 s[2:3], exec, s[0:1]
	s_cbranch_execz .LBB13_7
; %bb.6:
	v_cvt_f32_u32_e32 v4, s24
	v_cvt_f32_u32_e32 v5, s25
	s_sub_u32 s28, 0, s24
	s_subb_u32 s29, 0, s25
	v_madmk_f32 v4, v5, 0x4f800000, v4
	v_rcp_f32_e32 v4, v4
	v_mul_f32_e32 v4, 0x5f7ffffc, v4
	v_mul_f32_e32 v5, 0x2f800000, v4
	v_trunc_f32_e32 v5, v5
	v_madmk_f32 v4, v5, 0xcf800000, v4
	v_cvt_u32_f32_e32 v5, v5
	v_cvt_u32_f32_e32 v4, v4
	v_readfirstlane_b32 s30, v5
	v_readfirstlane_b32 s0, v4
	s_mul_i32 s1, s28, s30
	s_mul_hi_u32 s33, s28, s0
	s_mul_i32 s31, s29, s0
	s_add_i32 s1, s33, s1
	s_mul_i32 s34, s28, s0
	s_add_i32 s1, s1, s31
	s_mul_i32 s33, s0, s1
	s_mul_hi_u32 s35, s0, s34
	s_mul_hi_u32 s31, s0, s1
	s_add_u32 s33, s35, s33
	s_addc_u32 s31, 0, s31
	s_mul_hi_u32 s36, s30, s34
	s_mul_i32 s34, s30, s34
	s_add_u32 s33, s33, s34
	s_mul_hi_u32 s35, s30, s1
	s_addc_u32 s31, s31, s36
	s_addc_u32 s33, s35, 0
	s_mul_i32 s1, s30, s1
	s_add_u32 s1, s31, s1
	s_addc_u32 s31, 0, s33
	s_add_u32 s33, s0, s1
	s_cselect_b64 s[0:1], -1, 0
	s_cmp_lg_u64 s[0:1], 0
	s_addc_u32 s30, s30, s31
	s_mul_i32 s0, s28, s30
	s_mul_hi_u32 s1, s28, s33
	s_add_i32 s0, s1, s0
	s_mul_i32 s29, s29, s33
	s_add_i32 s0, s0, s29
	s_mul_i32 s28, s28, s33
	s_mul_hi_u32 s29, s30, s28
	s_mul_i32 s31, s30, s28
	s_mul_i32 s35, s33, s0
	s_mul_hi_u32 s28, s33, s28
	s_mul_hi_u32 s34, s33, s0
	s_add_u32 s28, s28, s35
	s_addc_u32 s34, 0, s34
	s_add_u32 s28, s28, s31
	s_mul_hi_u32 s1, s30, s0
	s_addc_u32 s28, s34, s29
	s_addc_u32 s1, s1, 0
	s_mul_i32 s0, s30, s0
	s_add_u32 s0, s28, s0
	s_addc_u32 s28, 0, s1
	s_add_u32 s29, s33, s0
	s_cselect_b64 s[0:1], -1, 0
	s_cmp_lg_u64 s[0:1], 0
	s_addc_u32 s28, s30, s28
	v_mad_u64_u32 v[4:5], s[0:1], v2, s28, 0
	v_mul_hi_u32 v6, v2, s29
	v_add_co_u32_e32 v8, vcc, v6, v4
	v_addc_co_u32_e32 v9, vcc, 0, v5, vcc
	v_mad_u64_u32 v[4:5], s[0:1], v3, s29, 0
	v_mad_u64_u32 v[6:7], s[0:1], v3, s28, 0
	v_add_co_u32_e32 v4, vcc, v8, v4
	v_addc_co_u32_e32 v4, vcc, v9, v5, vcc
	v_addc_co_u32_e32 v5, vcc, 0, v7, vcc
	v_add_co_u32_e32 v6, vcc, v4, v6
	v_addc_co_u32_e32 v7, vcc, 0, v5, vcc
	v_mul_lo_u32 v8, s25, v6
	v_mul_lo_u32 v9, s24, v7
	v_mad_u64_u32 v[4:5], s[0:1], s24, v6, 0
	v_add3_u32 v5, v5, v9, v8
	v_sub_u32_e32 v8, v3, v5
	v_mov_b32_e32 v9, s25
	v_sub_co_u32_e32 v2, vcc, v2, v4
	v_subb_co_u32_e64 v4, s[0:1], v8, v9, vcc
	v_subrev_co_u32_e64 v8, s[0:1], s24, v2
	v_subbrev_co_u32_e64 v4, s[0:1], 0, v4, s[0:1]
	v_cmp_le_u32_e64 s[0:1], s25, v4
	v_cndmask_b32_e64 v9, 0, -1, s[0:1]
	v_cmp_le_u32_e64 s[0:1], s24, v8
	v_cndmask_b32_e64 v8, 0, -1, s[0:1]
	v_cmp_eq_u32_e64 s[0:1], s25, v4
	v_cndmask_b32_e64 v4, v9, v8, s[0:1]
	v_add_co_u32_e64 v8, s[0:1], 2, v6
	v_subb_co_u32_e32 v3, vcc, v3, v5, vcc
	v_addc_co_u32_e64 v9, s[0:1], 0, v7, s[0:1]
	v_cmp_le_u32_e32 vcc, s25, v3
	v_add_co_u32_e64 v10, s[0:1], 1, v6
	v_cndmask_b32_e64 v5, 0, -1, vcc
	v_cmp_le_u32_e32 vcc, s24, v2
	v_addc_co_u32_e64 v11, s[0:1], 0, v7, s[0:1]
	v_cndmask_b32_e64 v2, 0, -1, vcc
	v_cmp_eq_u32_e32 vcc, s25, v3
	v_cmp_ne_u32_e64 s[0:1], 0, v4
	v_cndmask_b32_e32 v2, v5, v2, vcc
	v_cndmask_b32_e64 v4, v11, v9, s[0:1]
	v_cmp_ne_u32_e32 vcc, 0, v2
	v_cndmask_b32_e64 v2, v10, v8, s[0:1]
	v_cndmask_b32_e32 v5, v7, v4, vcc
	v_cndmask_b32_e32 v4, v6, v2, vcc
                                        ; implicit-def: $vgpr2_vgpr3
.LBB13_7:
	s_andn2_saveexec_b64 s[0:1], s[2:3]
	s_cbranch_execz .LBB13_9
; %bb.8:
	v_cvt_f32_u32_e32 v3, s24
	s_sub_i32 s2, 0, s24
	v_rcp_iflag_f32_e32 v3, v3
	v_mul_f32_e32 v3, 0x4f7ffffe, v3
	v_cvt_u32_f32_e32 v3, v3
	v_mul_lo_u32 v4, s2, v3
	v_mul_hi_u32 v4, v3, v4
	v_add_u32_e32 v3, v3, v4
	v_mul_hi_u32 v3, v2, v3
	v_mul_lo_u32 v4, v3, s24
	v_add_u32_e32 v5, 1, v3
	v_sub_u32_e32 v2, v2, v4
	v_subrev_u32_e32 v4, s24, v2
	v_cmp_le_u32_e32 vcc, s24, v2
	v_cndmask_b32_e32 v2, v2, v4, vcc
	v_cndmask_b32_e32 v3, v3, v5, vcc
	v_add_u32_e32 v4, 1, v3
	v_cmp_le_u32_e32 vcc, s24, v2
	v_cndmask_b32_e32 v4, v3, v4, vcc
	v_mov_b32_e32 v5, 0
.LBB13_9:
	s_or_b64 exec, exec, s[0:1]
	v_or_b32_e32 v3, s21, v5
	v_mov_b32_e32 v2, 0
	v_cmp_ne_u64_e32 vcc, 0, v[2:3]
                                        ; implicit-def: $vgpr2_vgpr3
	s_and_saveexec_b64 s[0:1], vcc
	s_xor_b64 s[2:3], exec, s[0:1]
	s_cbranch_execz .LBB13_11
; %bb.10:
	v_cvt_f32_u32_e32 v2, s20
	v_cvt_f32_u32_e32 v3, s21
	s_sub_u32 s28, 0, s20
	s_subb_u32 s29, 0, s21
	v_madmk_f32 v2, v3, 0x4f800000, v2
	v_rcp_f32_e32 v2, v2
	v_mul_f32_e32 v2, 0x5f7ffffc, v2
	v_mul_f32_e32 v3, 0x2f800000, v2
	v_trunc_f32_e32 v3, v3
	v_madmk_f32 v2, v3, 0xcf800000, v2
	v_cvt_u32_f32_e32 v3, v3
	v_cvt_u32_f32_e32 v2, v2
	v_readfirstlane_b32 s30, v3
	v_readfirstlane_b32 s0, v2
	s_mul_i32 s1, s28, s30
	s_mul_hi_u32 s33, s28, s0
	s_mul_i32 s31, s29, s0
	s_add_i32 s1, s33, s1
	s_mul_i32 s34, s28, s0
	s_add_i32 s1, s1, s31
	s_mul_i32 s33, s0, s1
	s_mul_hi_u32 s35, s0, s34
	s_mul_hi_u32 s31, s0, s1
	s_add_u32 s33, s35, s33
	s_addc_u32 s31, 0, s31
	s_mul_hi_u32 s36, s30, s34
	s_mul_i32 s34, s30, s34
	s_add_u32 s33, s33, s34
	s_mul_hi_u32 s35, s30, s1
	s_addc_u32 s31, s31, s36
	s_addc_u32 s33, s35, 0
	s_mul_i32 s1, s30, s1
	s_add_u32 s1, s31, s1
	s_addc_u32 s31, 0, s33
	s_add_u32 s33, s0, s1
	s_cselect_b64 s[0:1], -1, 0
	s_cmp_lg_u64 s[0:1], 0
	s_addc_u32 s30, s30, s31
	s_mul_i32 s0, s28, s30
	s_mul_hi_u32 s1, s28, s33
	s_add_i32 s0, s1, s0
	s_mul_i32 s29, s29, s33
	s_add_i32 s0, s0, s29
	s_mul_i32 s28, s28, s33
	s_mul_hi_u32 s29, s30, s28
	s_mul_i32 s31, s30, s28
	s_mul_i32 s35, s33, s0
	s_mul_hi_u32 s28, s33, s28
	s_mul_hi_u32 s34, s33, s0
	s_add_u32 s28, s28, s35
	s_addc_u32 s34, 0, s34
	s_add_u32 s28, s28, s31
	s_mul_hi_u32 s1, s30, s0
	s_addc_u32 s28, s34, s29
	s_addc_u32 s1, s1, 0
	s_mul_i32 s0, s30, s0
	s_add_u32 s0, s28, s0
	s_addc_u32 s28, 0, s1
	s_add_u32 s29, s33, s0
	s_cselect_b64 s[0:1], -1, 0
	s_cmp_lg_u64 s[0:1], 0
	s_addc_u32 s28, s30, s28
	v_mad_u64_u32 v[2:3], s[0:1], v4, s28, 0
	v_mul_hi_u32 v6, v4, s29
	v_add_co_u32_e32 v8, vcc, v6, v2
	v_addc_co_u32_e32 v9, vcc, 0, v3, vcc
	v_mad_u64_u32 v[2:3], s[0:1], v5, s29, 0
	v_mad_u64_u32 v[6:7], s[0:1], v5, s28, 0
	v_add_co_u32_e32 v2, vcc, v8, v2
	v_addc_co_u32_e32 v2, vcc, v9, v3, vcc
	v_addc_co_u32_e32 v3, vcc, 0, v7, vcc
	v_add_co_u32_e32 v2, vcc, v2, v6
	v_addc_co_u32_e32 v3, vcc, 0, v3, vcc
	v_mul_lo_u32 v6, s21, v2
	v_mul_lo_u32 v7, s20, v3
	v_mad_u64_u32 v[2:3], s[0:1], s20, v2, 0
	v_add3_u32 v3, v3, v7, v6
	v_sub_u32_e32 v6, v5, v3
	v_mov_b32_e32 v7, s21
	v_sub_co_u32_e32 v2, vcc, v4, v2
	v_subb_co_u32_e64 v4, s[0:1], v6, v7, vcc
	v_subrev_co_u32_e64 v6, s[0:1], s20, v2
	v_subbrev_co_u32_e64 v4, s[0:1], 0, v4, s[0:1]
	v_cmp_le_u32_e64 s[0:1], s21, v4
	v_subb_co_u32_e32 v3, vcc, v5, v3, vcc
	v_cndmask_b32_e64 v7, 0, -1, s[0:1]
	v_cmp_le_u32_e64 s[0:1], s20, v6
	v_cmp_le_u32_e32 vcc, s21, v3
	v_cndmask_b32_e64 v8, 0, -1, s[0:1]
	v_cmp_eq_u32_e64 s[0:1], s21, v4
	v_cndmask_b32_e64 v5, 0, -1, vcc
	v_cmp_le_u32_e32 vcc, s20, v2
	v_cndmask_b32_e64 v4, v7, v8, s[0:1]
	v_cndmask_b32_e64 v8, 0, -1, vcc
	v_cmp_eq_u32_e32 vcc, s21, v3
	v_subrev_co_u32_e64 v7, s[0:1], s20, v6
	v_cndmask_b32_e32 v3, v5, v8, vcc
	v_cmp_ne_u32_e32 vcc, 0, v4
	v_cndmask_b32_e32 v4, v6, v7, vcc
	v_cmp_ne_u32_e32 vcc, 0, v3
	v_cndmask_b32_e32 v2, v2, v4, vcc
                                        ; implicit-def: $vgpr4_vgpr5
.LBB13_11:
	s_andn2_saveexec_b64 s[0:1], s[2:3]
	s_cbranch_execz .LBB13_13
; %bb.12:
	v_cvt_f32_u32_e32 v2, s20
	s_sub_i32 s2, 0, s20
	v_rcp_iflag_f32_e32 v2, v2
	v_mul_f32_e32 v2, 0x4f7ffffe, v2
	v_cvt_u32_f32_e32 v2, v2
	v_mul_lo_u32 v3, s2, v2
	v_mul_hi_u32 v3, v2, v3
	v_add_u32_e32 v2, v2, v3
	v_mul_hi_u32 v2, v4, v2
	v_mul_lo_u32 v2, v2, s20
	v_sub_u32_e32 v2, v4, v2
	v_subrev_u32_e32 v3, s20, v2
	v_cmp_le_u32_e32 vcc, s20, v2
	v_cndmask_b32_e32 v2, v2, v3, vcc
	v_subrev_u32_e32 v3, s20, v2
	v_cmp_le_u32_e32 vcc, s20, v2
	v_cndmask_b32_e32 v2, v2, v3, vcc
.LBB13_13:
	s_or_b64 exec, exec, s[0:1]
	v_or_b32_e32 v4, s25, v1
	v_mov_b32_e32 v3, 0
	v_cmp_ne_u64_e32 vcc, 0, v[3:4]
                                        ; implicit-def: $vgpr3_vgpr4
	s_and_saveexec_b64 s[0:1], vcc
	s_xor_b64 s[2:3], exec, s[0:1]
	s_cbranch_execz .LBB13_15
; %bb.14:
	v_cvt_f32_u32_e32 v3, s24
	v_cvt_f32_u32_e32 v4, s25
	s_sub_u32 s20, 0, s24
	s_subb_u32 s21, 0, s25
	v_madmk_f32 v3, v4, 0x4f800000, v3
	v_rcp_f32_e32 v3, v3
	v_mul_f32_e32 v3, 0x5f7ffffc, v3
	v_mul_f32_e32 v4, 0x2f800000, v3
	v_trunc_f32_e32 v4, v4
	v_madmk_f32 v3, v4, 0xcf800000, v3
	v_cvt_u32_f32_e32 v4, v4
	v_cvt_u32_f32_e32 v3, v3
	v_readfirstlane_b32 s28, v4
	v_readfirstlane_b32 s0, v3
	s_mul_i32 s1, s20, s28
	s_mul_hi_u32 s30, s20, s0
	s_mul_i32 s29, s21, s0
	s_add_i32 s1, s30, s1
	s_mul_i32 s31, s20, s0
	s_add_i32 s1, s1, s29
	s_mul_i32 s30, s0, s1
	s_mul_hi_u32 s33, s0, s31
	s_mul_hi_u32 s29, s0, s1
	s_add_u32 s30, s33, s30
	s_addc_u32 s29, 0, s29
	s_mul_hi_u32 s34, s28, s31
	s_mul_i32 s31, s28, s31
	s_add_u32 s30, s30, s31
	s_mul_hi_u32 s33, s28, s1
	s_addc_u32 s29, s29, s34
	s_addc_u32 s30, s33, 0
	s_mul_i32 s1, s28, s1
	s_add_u32 s1, s29, s1
	s_addc_u32 s29, 0, s30
	s_add_u32 s30, s0, s1
	s_cselect_b64 s[0:1], -1, 0
	s_cmp_lg_u64 s[0:1], 0
	s_addc_u32 s28, s28, s29
	s_mul_i32 s0, s20, s28
	s_mul_hi_u32 s1, s20, s30
	s_add_i32 s0, s1, s0
	s_mul_i32 s21, s21, s30
	s_add_i32 s0, s0, s21
	s_mul_i32 s20, s20, s30
	s_mul_hi_u32 s21, s28, s20
	s_mul_i32 s29, s28, s20
	s_mul_i32 s33, s30, s0
	s_mul_hi_u32 s20, s30, s20
	s_mul_hi_u32 s31, s30, s0
	s_add_u32 s20, s20, s33
	s_addc_u32 s31, 0, s31
	s_add_u32 s20, s20, s29
	s_mul_hi_u32 s1, s28, s0
	s_addc_u32 s20, s31, s21
	s_addc_u32 s1, s1, 0
	s_mul_i32 s0, s28, s0
	s_add_u32 s0, s20, s0
	s_addc_u32 s20, 0, s1
	s_add_u32 s21, s30, s0
	s_cselect_b64 s[0:1], -1, 0
	s_cmp_lg_u64 s[0:1], 0
	s_addc_u32 s20, s28, s20
	v_mad_u64_u32 v[3:4], s[0:1], v0, s20, 0
	v_mul_hi_u32 v5, v0, s21
	v_add_co_u32_e32 v7, vcc, v5, v3
	v_addc_co_u32_e32 v8, vcc, 0, v4, vcc
	v_mad_u64_u32 v[3:4], s[0:1], v1, s21, 0
	v_mad_u64_u32 v[5:6], s[0:1], v1, s20, 0
	v_add_co_u32_e32 v3, vcc, v7, v3
	v_addc_co_u32_e32 v3, vcc, v8, v4, vcc
	v_addc_co_u32_e32 v4, vcc, 0, v6, vcc
	v_add_co_u32_e32 v5, vcc, v3, v5
	v_addc_co_u32_e32 v6, vcc, 0, v4, vcc
	v_mul_lo_u32 v7, s25, v5
	v_mul_lo_u32 v8, s24, v6
	v_mad_u64_u32 v[3:4], s[0:1], s24, v5, 0
	v_add3_u32 v4, v4, v8, v7
	v_sub_u32_e32 v7, v1, v4
	v_mov_b32_e32 v8, s25
	v_sub_co_u32_e32 v3, vcc, v0, v3
	v_subb_co_u32_e64 v7, s[0:1], v7, v8, vcc
	v_subrev_co_u32_e64 v8, s[0:1], s24, v3
	v_subbrev_co_u32_e64 v7, s[0:1], 0, v7, s[0:1]
	v_cmp_le_u32_e64 s[0:1], s25, v7
	v_cndmask_b32_e64 v9, 0, -1, s[0:1]
	v_cmp_le_u32_e64 s[0:1], s24, v8
	v_cndmask_b32_e64 v8, 0, -1, s[0:1]
	v_cmp_eq_u32_e64 s[0:1], s25, v7
	v_cndmask_b32_e64 v7, v9, v8, s[0:1]
	v_add_co_u32_e64 v8, s[0:1], 2, v5
	v_addc_co_u32_e64 v9, s[0:1], 0, v6, s[0:1]
	v_add_co_u32_e64 v10, s[0:1], 1, v5
	v_addc_co_u32_e64 v11, s[0:1], 0, v6, s[0:1]
	v_subb_co_u32_e32 v4, vcc, v1, v4, vcc
	v_cmp_ne_u32_e64 s[0:1], 0, v7
	v_cmp_le_u32_e32 vcc, s25, v4
	v_cndmask_b32_e64 v7, v11, v9, s[0:1]
	v_cndmask_b32_e64 v9, 0, -1, vcc
	v_cmp_le_u32_e32 vcc, s24, v3
	v_cndmask_b32_e64 v3, 0, -1, vcc
	v_cmp_eq_u32_e32 vcc, s25, v4
	v_cndmask_b32_e32 v3, v9, v3, vcc
	v_cmp_ne_u32_e32 vcc, 0, v3
	v_cndmask_b32_e64 v3, v10, v8, s[0:1]
	v_cndmask_b32_e32 v4, v6, v7, vcc
	v_cndmask_b32_e32 v3, v5, v3, vcc
.LBB13_15:
	s_andn2_saveexec_b64 s[0:1], s[2:3]
	s_cbranch_execz .LBB13_17
; %bb.16:
	v_cvt_f32_u32_e32 v3, s24
	s_sub_i32 s2, 0, s24
	v_rcp_iflag_f32_e32 v3, v3
	v_mul_f32_e32 v3, 0x4f7ffffe, v3
	v_cvt_u32_f32_e32 v3, v3
	v_mul_lo_u32 v4, s2, v3
	v_mul_hi_u32 v4, v3, v4
	v_add_u32_e32 v3, v3, v4
	v_mul_hi_u32 v3, v0, v3
	v_mul_lo_u32 v4, v3, s24
	v_add_u32_e32 v5, 1, v3
	v_sub_u32_e32 v4, v0, v4
	v_subrev_u32_e32 v6, s24, v4
	v_cmp_le_u32_e32 vcc, s24, v4
	v_cndmask_b32_e32 v4, v4, v6, vcc
	v_cndmask_b32_e32 v3, v3, v5, vcc
	v_add_u32_e32 v5, 1, v3
	v_cmp_le_u32_e32 vcc, s24, v4
	v_cndmask_b32_e32 v3, v3, v5, vcc
	v_mov_b32_e32 v4, 0
.LBB13_17:
	s_or_b64 exec, exec, s[0:1]
	v_or_b32_e32 v6, s23, v4
	v_mov_b32_e32 v5, 0
	v_cmp_ne_u64_e32 vcc, 0, v[5:6]
                                        ; implicit-def: $vgpr5_vgpr6
	s_and_saveexec_b64 s[0:1], vcc
	s_xor_b64 s[2:3], exec, s[0:1]
	s_cbranch_execnz .LBB13_20
; %bb.18:
	s_andn2_saveexec_b64 s[0:1], s[2:3]
	s_cbranch_execnz .LBB13_21
.LBB13_19:
	s_or_b64 exec, exec, s[0:1]
	s_cmp_eq_u64 s[10:11], 0
	s_cbranch_scc0 .LBB13_22
	s_branch .LBB13_44
.LBB13_20:
	v_cvt_f32_u32_e32 v5, s22
	v_cvt_f32_u32_e32 v6, s23
	s_sub_u32 s20, 0, s22
	s_subb_u32 s21, 0, s23
	v_madmk_f32 v5, v6, 0x4f800000, v5
	v_rcp_f32_e32 v5, v5
	v_mul_f32_e32 v5, 0x5f7ffffc, v5
	v_mul_f32_e32 v6, 0x2f800000, v5
	v_trunc_f32_e32 v6, v6
	v_madmk_f32 v5, v6, 0xcf800000, v5
	v_cvt_u32_f32_e32 v6, v6
	v_cvt_u32_f32_e32 v5, v5
	v_readfirstlane_b32 s28, v6
	v_readfirstlane_b32 s0, v5
	s_mul_i32 s1, s20, s28
	s_mul_hi_u32 s30, s20, s0
	s_mul_i32 s29, s21, s0
	s_add_i32 s1, s30, s1
	s_mul_i32 s31, s20, s0
	s_add_i32 s1, s1, s29
	s_mul_i32 s30, s0, s1
	s_mul_hi_u32 s33, s0, s31
	s_mul_hi_u32 s29, s0, s1
	s_add_u32 s30, s33, s30
	s_addc_u32 s29, 0, s29
	s_mul_hi_u32 s34, s28, s31
	s_mul_i32 s31, s28, s31
	s_add_u32 s30, s30, s31
	s_mul_hi_u32 s33, s28, s1
	s_addc_u32 s29, s29, s34
	s_addc_u32 s30, s33, 0
	s_mul_i32 s1, s28, s1
	s_add_u32 s1, s29, s1
	s_addc_u32 s29, 0, s30
	s_add_u32 s30, s0, s1
	s_cselect_b64 s[0:1], -1, 0
	s_cmp_lg_u64 s[0:1], 0
	s_addc_u32 s28, s28, s29
	s_mul_i32 s0, s20, s28
	s_mul_hi_u32 s1, s20, s30
	s_add_i32 s0, s1, s0
	s_mul_i32 s21, s21, s30
	s_add_i32 s0, s0, s21
	s_mul_i32 s20, s20, s30
	s_mul_hi_u32 s21, s28, s20
	s_mul_i32 s29, s28, s20
	s_mul_i32 s33, s30, s0
	s_mul_hi_u32 s20, s30, s20
	s_mul_hi_u32 s31, s30, s0
	s_add_u32 s20, s20, s33
	s_addc_u32 s31, 0, s31
	s_add_u32 s20, s20, s29
	s_mul_hi_u32 s1, s28, s0
	s_addc_u32 s20, s31, s21
	s_addc_u32 s1, s1, 0
	s_mul_i32 s0, s28, s0
	s_add_u32 s0, s20, s0
	s_addc_u32 s20, 0, s1
	s_add_u32 s21, s30, s0
	s_cselect_b64 s[0:1], -1, 0
	s_cmp_lg_u64 s[0:1], 0
	s_addc_u32 s20, s28, s20
	v_mad_u64_u32 v[5:6], s[0:1], v3, s20, 0
	v_mul_hi_u32 v7, v3, s21
	v_add_co_u32_e32 v9, vcc, v7, v5
	v_addc_co_u32_e32 v10, vcc, 0, v6, vcc
	v_mad_u64_u32 v[5:6], s[0:1], v4, s21, 0
	v_mad_u64_u32 v[7:8], s[0:1], v4, s20, 0
	v_add_co_u32_e32 v5, vcc, v9, v5
	v_addc_co_u32_e32 v5, vcc, v10, v6, vcc
	v_addc_co_u32_e32 v6, vcc, 0, v8, vcc
	v_add_co_u32_e32 v5, vcc, v5, v7
	v_addc_co_u32_e32 v6, vcc, 0, v6, vcc
	v_mul_lo_u32 v7, s23, v5
	v_mul_lo_u32 v8, s22, v6
	v_mad_u64_u32 v[5:6], s[0:1], s22, v5, 0
	v_add3_u32 v6, v6, v8, v7
	v_sub_u32_e32 v7, v4, v6
	v_mov_b32_e32 v8, s23
	v_sub_co_u32_e32 v5, vcc, v3, v5
	v_subb_co_u32_e64 v7, s[0:1], v7, v8, vcc
	v_subrev_co_u32_e64 v8, s[0:1], s22, v5
	v_subbrev_co_u32_e64 v7, s[0:1], 0, v7, s[0:1]
	v_cmp_le_u32_e64 s[0:1], s23, v7
	v_subb_co_u32_e32 v4, vcc, v4, v6, vcc
	v_cndmask_b32_e64 v9, 0, -1, s[0:1]
	v_cmp_le_u32_e64 s[0:1], s22, v8
	v_cmp_le_u32_e32 vcc, s23, v4
	v_cndmask_b32_e64 v10, 0, -1, s[0:1]
	v_cmp_eq_u32_e64 s[0:1], s23, v7
	v_cndmask_b32_e64 v6, 0, -1, vcc
	v_cmp_le_u32_e32 vcc, s22, v5
	v_cndmask_b32_e64 v7, v9, v10, s[0:1]
	v_cndmask_b32_e64 v10, 0, -1, vcc
	v_cmp_eq_u32_e32 vcc, s23, v4
	v_subrev_co_u32_e64 v9, s[0:1], s22, v8
	v_cndmask_b32_e32 v4, v6, v10, vcc
	v_cmp_ne_u32_e32 vcc, 0, v7
	v_cndmask_b32_e32 v6, v8, v9, vcc
	v_cmp_ne_u32_e32 vcc, 0, v4
	v_cndmask_b32_e32 v5, v5, v6, vcc
	s_andn2_saveexec_b64 s[0:1], s[2:3]
	s_cbranch_execz .LBB13_19
.LBB13_21:
	v_cvt_f32_u32_e32 v4, s22
	s_sub_i32 s2, 0, s22
	v_rcp_iflag_f32_e32 v4, v4
	v_mul_f32_e32 v4, 0x4f7ffffe, v4
	v_cvt_u32_f32_e32 v4, v4
	v_mul_lo_u32 v5, s2, v4
	v_mul_hi_u32 v5, v4, v5
	v_add_u32_e32 v4, v4, v5
	v_mul_hi_u32 v4, v3, v4
	v_mul_lo_u32 v4, v4, s22
	v_sub_u32_e32 v4, v3, v4
	v_subrev_u32_e32 v5, s22, v4
	v_cmp_le_u32_e32 vcc, s22, v4
	v_cndmask_b32_e32 v4, v4, v5, vcc
	v_subrev_u32_e32 v5, s22, v4
	v_cmp_le_u32_e32 vcc, s22, v4
	v_cndmask_b32_e32 v5, v4, v5, vcc
	s_or_b64 exec, exec, s[0:1]
	s_cmp_eq_u64 s[10:11], 0
	s_cbranch_scc1 .LBB13_44
.LBB13_22:
	s_mul_i32 s0, s6, s25
	s_mul_hi_u32 s1, s6, s24
	s_add_i32 s0, s1, s0
	s_mul_i32 s7, s7, s24
	s_add_i32 s22, s0, s7
	v_or_b32_e32 v7, s22, v1
	v_mov_b32_e32 v6, 0
	v_cmp_ne_u64_e32 vcc, 0, v[6:7]
	s_mul_i32 s23, s6, s24
                                        ; implicit-def: $vgpr8_vgpr9
	s_and_saveexec_b64 s[0:1], vcc
	s_xor_b64 s[2:3], exec, s[0:1]
	s_cbranch_execz .LBB13_24
; %bb.23:
	s_ashr_i32 s6, s22, 31
	s_add_u32 s0, s23, s6
	s_mov_b32 s7, s6
	s_addc_u32 s1, s22, s6
	s_xor_b64 s[20:21], s[0:1], s[6:7]
	v_cvt_f32_u32_e32 v4, s20
	v_cvt_f32_u32_e32 v6, s21
	s_sub_u32 s7, 0, s20
	s_subb_u32 s25, 0, s21
	v_madmk_f32 v4, v6, 0x4f800000, v4
	v_rcp_f32_e32 v4, v4
	v_mul_f32_e32 v4, 0x5f7ffffc, v4
	v_mul_f32_e32 v6, 0x2f800000, v4
	v_trunc_f32_e32 v6, v6
	v_madmk_f32 v4, v6, 0xcf800000, v4
	v_cvt_u32_f32_e32 v6, v6
	v_cvt_u32_f32_e32 v4, v4
	v_readfirstlane_b32 s28, v6
	v_readfirstlane_b32 s0, v4
	s_mul_i32 s1, s7, s28
	s_mul_hi_u32 s30, s7, s0
	s_mul_i32 s29, s25, s0
	s_add_i32 s1, s30, s1
	s_add_i32 s1, s1, s29
	s_mul_i32 s31, s7, s0
	s_mul_i32 s30, s0, s1
	s_mul_hi_u32 s33, s0, s31
	s_mul_hi_u32 s29, s0, s1
	s_add_u32 s30, s33, s30
	s_addc_u32 s29, 0, s29
	s_mul_hi_u32 s34, s28, s31
	s_mul_i32 s31, s28, s31
	s_add_u32 s30, s30, s31
	s_mul_hi_u32 s33, s28, s1
	s_addc_u32 s29, s29, s34
	s_addc_u32 s30, s33, 0
	s_mul_i32 s1, s28, s1
	s_add_u32 s1, s29, s1
	s_addc_u32 s29, 0, s30
	s_add_u32 s30, s0, s1
	s_cselect_b64 s[0:1], -1, 0
	s_cmp_lg_u64 s[0:1], 0
	s_addc_u32 s28, s28, s29
	s_mul_i32 s0, s7, s28
	s_mul_hi_u32 s1, s7, s30
	s_add_i32 s0, s1, s0
	s_mul_i32 s25, s25, s30
	s_add_i32 s0, s0, s25
	s_mul_i32 s7, s7, s30
	s_mul_hi_u32 s25, s28, s7
	s_mul_i32 s29, s28, s7
	s_mul_i32 s33, s30, s0
	s_mul_hi_u32 s7, s30, s7
	s_mul_hi_u32 s31, s30, s0
	s_add_u32 s7, s7, s33
	s_addc_u32 s31, 0, s31
	s_add_u32 s7, s7, s29
	s_mul_hi_u32 s1, s28, s0
	s_addc_u32 s7, s31, s25
	s_addc_u32 s1, s1, 0
	s_mul_i32 s0, s28, s0
	s_add_u32 s0, s7, s0
	s_addc_u32 s7, 0, s1
	s_add_u32 s25, s30, s0
	s_cselect_b64 s[0:1], -1, 0
	v_ashrrev_i32_e32 v4, 31, v1
	s_cmp_lg_u64 s[0:1], 0
	v_add_co_u32_e32 v6, vcc, v0, v4
	s_addc_u32 s7, s28, s7
	v_xor_b32_e32 v10, v6, v4
	v_mad_u64_u32 v[6:7], s[0:1], v10, s7, 0
	v_mul_hi_u32 v9, v10, s25
	v_addc_co_u32_e32 v8, vcc, v1, v4, vcc
	v_xor_b32_e32 v11, v8, v4
	v_add_co_u32_e32 v12, vcc, v9, v6
	v_addc_co_u32_e32 v13, vcc, 0, v7, vcc
	v_mad_u64_u32 v[6:7], s[0:1], v11, s25, 0
	v_mad_u64_u32 v[8:9], s[0:1], v11, s7, 0
	v_add_co_u32_e32 v6, vcc, v12, v6
	v_addc_co_u32_e32 v6, vcc, v13, v7, vcc
	v_addc_co_u32_e32 v7, vcc, 0, v9, vcc
	v_add_co_u32_e32 v8, vcc, v6, v8
	v_addc_co_u32_e32 v9, vcc, 0, v7, vcc
	v_mul_lo_u32 v12, s21, v8
	v_mul_lo_u32 v13, s20, v9
	v_mad_u64_u32 v[6:7], s[0:1], s20, v8, 0
	v_xor_b32_e32 v4, s6, v4
	v_add3_u32 v7, v7, v13, v12
	v_sub_u32_e32 v12, v11, v7
	v_mov_b32_e32 v13, s21
	v_sub_co_u32_e32 v6, vcc, v10, v6
	v_subb_co_u32_e64 v10, s[0:1], v12, v13, vcc
	v_subrev_co_u32_e64 v12, s[0:1], s20, v6
	v_subbrev_co_u32_e64 v10, s[0:1], 0, v10, s[0:1]
	v_cmp_le_u32_e64 s[0:1], s21, v10
	v_cndmask_b32_e64 v13, 0, -1, s[0:1]
	v_cmp_le_u32_e64 s[0:1], s20, v12
	v_cndmask_b32_e64 v12, 0, -1, s[0:1]
	v_cmp_eq_u32_e64 s[0:1], s21, v10
	v_cndmask_b32_e64 v10, v13, v12, s[0:1]
	v_add_co_u32_e64 v12, s[0:1], 2, v8
	v_subb_co_u32_e32 v7, vcc, v11, v7, vcc
	v_addc_co_u32_e64 v13, s[0:1], 0, v9, s[0:1]
	v_cmp_le_u32_e32 vcc, s21, v7
	v_add_co_u32_e64 v14, s[0:1], 1, v8
	v_cndmask_b32_e64 v11, 0, -1, vcc
	v_cmp_le_u32_e32 vcc, s20, v6
	v_addc_co_u32_e64 v15, s[0:1], 0, v9, s[0:1]
	v_cndmask_b32_e64 v6, 0, -1, vcc
	v_cmp_eq_u32_e32 vcc, s21, v7
	v_cmp_ne_u32_e64 s[0:1], 0, v10
	v_cndmask_b32_e32 v6, v11, v6, vcc
	v_cmp_ne_u32_e32 vcc, 0, v6
	v_cndmask_b32_e64 v7, v14, v12, s[0:1]
	v_cndmask_b32_e64 v10, v15, v13, s[0:1]
	v_cndmask_b32_e32 v7, v8, v7, vcc
	v_cndmask_b32_e32 v6, v9, v10, vcc
	v_xor_b32_e32 v7, v7, v4
	v_xor_b32_e32 v6, v6, v4
	v_sub_co_u32_e32 v8, vcc, v7, v4
	v_subb_co_u32_e32 v9, vcc, v6, v4, vcc
.LBB13_24:
	s_andn2_saveexec_b64 s[0:1], s[2:3]
	s_cbranch_execz .LBB13_26
; %bb.25:
	v_cvt_f32_u32_e32 v4, s23
	s_sub_i32 s2, 0, s23
	v_mov_b32_e32 v9, 0
	v_rcp_iflag_f32_e32 v4, v4
	v_mul_f32_e32 v4, 0x4f7ffffe, v4
	v_cvt_u32_f32_e32 v4, v4
	v_mul_lo_u32 v6, s2, v4
	v_mul_hi_u32 v6, v4, v6
	v_add_u32_e32 v4, v4, v6
	v_mul_hi_u32 v4, v0, v4
	v_mul_lo_u32 v6, v4, s23
	v_add_u32_e32 v7, 1, v4
	v_sub_u32_e32 v6, v0, v6
	v_subrev_u32_e32 v8, s23, v6
	v_cmp_le_u32_e32 vcc, s23, v6
	v_cndmask_b32_e32 v6, v6, v8, vcc
	v_cndmask_b32_e32 v4, v4, v7, vcc
	v_add_u32_e32 v7, 1, v4
	v_cmp_le_u32_e32 vcc, s23, v6
	v_cndmask_b32_e32 v8, v4, v7, vcc
.LBB13_26:
	s_or_b64 exec, exec, s[0:1]
	v_or_b32_e32 v7, s13, v9
	v_mov_b32_e32 v6, 0
	v_cmp_ne_u64_e32 vcc, 0, v[6:7]
                                        ; implicit-def: $vgpr6_vgpr7
	s_and_saveexec_b64 s[0:1], vcc
	s_xor_b64 s[2:3], exec, s[0:1]
	s_cbranch_execz .LBB13_28
; %bb.27:
	v_cvt_f32_u32_e32 v4, s12
	v_cvt_f32_u32_e32 v6, s13
	s_sub_u32 s6, 0, s12
	s_subb_u32 s7, 0, s13
	v_madmk_f32 v4, v6, 0x4f800000, v4
	v_rcp_f32_e32 v4, v4
	v_mul_f32_e32 v4, 0x5f7ffffc, v4
	v_mul_f32_e32 v6, 0x2f800000, v4
	v_trunc_f32_e32 v6, v6
	v_madmk_f32 v4, v6, 0xcf800000, v4
	v_cvt_u32_f32_e32 v6, v6
	v_cvt_u32_f32_e32 v4, v4
	v_readfirstlane_b32 s20, v6
	v_readfirstlane_b32 s0, v4
	s_mul_i32 s1, s6, s20
	s_mul_hi_u32 s25, s6, s0
	s_mul_i32 s21, s7, s0
	s_add_i32 s1, s25, s1
	s_mul_i32 s28, s6, s0
	s_add_i32 s1, s1, s21
	s_mul_i32 s25, s0, s1
	s_mul_hi_u32 s29, s0, s28
	s_mul_hi_u32 s21, s0, s1
	s_add_u32 s25, s29, s25
	s_addc_u32 s21, 0, s21
	s_mul_hi_u32 s30, s20, s28
	s_mul_i32 s28, s20, s28
	s_add_u32 s25, s25, s28
	s_mul_hi_u32 s29, s20, s1
	s_addc_u32 s21, s21, s30
	s_addc_u32 s25, s29, 0
	s_mul_i32 s1, s20, s1
	s_add_u32 s1, s21, s1
	s_addc_u32 s21, 0, s25
	s_add_u32 s25, s0, s1
	s_cselect_b64 s[0:1], -1, 0
	s_cmp_lg_u64 s[0:1], 0
	s_addc_u32 s20, s20, s21
	s_mul_i32 s0, s6, s20
	s_mul_hi_u32 s1, s6, s25
	s_add_i32 s0, s1, s0
	s_mul_i32 s7, s7, s25
	s_add_i32 s0, s0, s7
	s_mul_i32 s6, s6, s25
	s_mul_hi_u32 s7, s20, s6
	s_mul_i32 s21, s20, s6
	s_mul_i32 s29, s25, s0
	s_mul_hi_u32 s6, s25, s6
	s_mul_hi_u32 s28, s25, s0
	s_add_u32 s6, s6, s29
	s_addc_u32 s28, 0, s28
	s_add_u32 s6, s6, s21
	s_mul_hi_u32 s1, s20, s0
	s_addc_u32 s6, s28, s7
	s_addc_u32 s1, s1, 0
	s_mul_i32 s0, s20, s0
	s_add_u32 s0, s6, s0
	s_addc_u32 s6, 0, s1
	s_add_u32 s7, s25, s0
	s_cselect_b64 s[0:1], -1, 0
	s_cmp_lg_u64 s[0:1], 0
	s_addc_u32 s6, s20, s6
	v_mad_u64_u32 v[6:7], s[0:1], v8, s6, 0
	v_mul_hi_u32 v4, v8, s7
	v_mad_u64_u32 v[10:11], s[0:1], v9, s6, 0
	v_add_co_u32_e32 v4, vcc, v4, v6
	v_addc_co_u32_e32 v12, vcc, 0, v7, vcc
	v_mad_u64_u32 v[6:7], s[0:1], v9, s7, 0
	v_add_co_u32_e32 v4, vcc, v4, v6
	v_addc_co_u32_e32 v4, vcc, v12, v7, vcc
	v_addc_co_u32_e32 v6, vcc, 0, v11, vcc
	v_add_co_u32_e32 v4, vcc, v4, v10
	v_addc_co_u32_e32 v6, vcc, 0, v6, vcc
	v_mul_lo_u32 v10, s13, v4
	v_mul_lo_u32 v11, s12, v6
	v_mad_u64_u32 v[6:7], s[0:1], s12, v4, 0
	v_add3_u32 v4, v7, v11, v10
	v_sub_u32_e32 v7, v9, v4
	v_mov_b32_e32 v10, s13
	v_sub_co_u32_e32 v6, vcc, v8, v6
	v_subb_co_u32_e64 v7, s[0:1], v7, v10, vcc
	v_subrev_co_u32_e64 v8, s[0:1], s12, v6
	v_subbrev_co_u32_e64 v7, s[0:1], 0, v7, s[0:1]
	v_cmp_le_u32_e64 s[0:1], s13, v7
	v_subb_co_u32_e32 v4, vcc, v9, v4, vcc
	v_cndmask_b32_e64 v10, 0, -1, s[0:1]
	v_cmp_le_u32_e64 s[0:1], s12, v8
	v_cmp_le_u32_e32 vcc, s13, v4
	v_cndmask_b32_e64 v11, 0, -1, s[0:1]
	v_cmp_eq_u32_e64 s[0:1], s13, v7
	v_cndmask_b32_e64 v9, 0, -1, vcc
	v_cmp_le_u32_e32 vcc, s12, v6
	v_cndmask_b32_e64 v7, v10, v11, s[0:1]
	v_cndmask_b32_e64 v11, 0, -1, vcc
	v_cmp_eq_u32_e32 vcc, s13, v4
	v_subrev_co_u32_e64 v10, s[0:1], s12, v8
	v_cndmask_b32_e32 v4, v9, v11, vcc
	v_cmp_ne_u32_e32 vcc, 0, v7
	v_cndmask_b32_e32 v7, v8, v10, vcc
	v_cmp_ne_u32_e32 vcc, 0, v4
	v_cndmask_b32_e32 v6, v6, v7, vcc
                                        ; implicit-def: $vgpr8_vgpr9
.LBB13_28:
	s_andn2_saveexec_b64 s[0:1], s[2:3]
	s_cbranch_execz .LBB13_30
; %bb.29:
	v_cvt_f32_u32_e32 v4, s12
	s_sub_i32 s2, 0, s12
	v_rcp_iflag_f32_e32 v4, v4
	v_mul_f32_e32 v4, 0x4f7ffffe, v4
	v_cvt_u32_f32_e32 v4, v4
	v_mul_lo_u32 v6, s2, v4
	v_mul_hi_u32 v6, v4, v6
	v_add_u32_e32 v4, v4, v6
	v_mul_hi_u32 v4, v8, v4
	v_mul_lo_u32 v4, v4, s12
	v_sub_u32_e32 v4, v8, v4
	v_subrev_u32_e32 v6, s12, v4
	v_cmp_le_u32_e32 vcc, s12, v4
	v_cndmask_b32_e32 v4, v4, v6, vcc
	v_subrev_u32_e32 v6, s12, v4
	v_cmp_le_u32_e32 vcc, s12, v4
	v_cndmask_b32_e32 v6, v4, v6, vcc
.LBB13_30:
	s_or_b64 exec, exec, s[0:1]
	v_mul_lo_u32 v3, v3, s24
	s_mul_i32 s0, s18, s17
	s_mul_hi_u32 s1, s18, s16
	s_add_i32 s0, s1, s0
	s_mul_i32 s1, s19, s16
	s_add_i32 s30, s0, s1
	s_load_dwordx4 s[0:3], s[4:5], 0x50
	v_sub_u32_e32 v3, v0, v3
	v_cvt_f32_i32_e32 v8, v3
	v_cvt_f32_i32_e32 v4, v5
	v_add_u32_e32 v5, 1, v5
	v_add_u32_e32 v3, 1, v3
	s_waitcnt lgkmcnt(0)
	v_mul_f32_e32 v8, s2, v8
	v_ceil_f32_e32 v8, v8
	v_cvt_i32_f32_e32 v12, v8
	v_cvt_f32_i32_e32 v8, v2
	v_add_u32_e32 v2, 1, v2
	v_cvt_f32_i32_e32 v5, v5
	v_cvt_f32_i32_e32 v3, v3
	;; [unrolled: 1-line block ×3, first 2 shown]
	v_mul_f32_e32 v4, s1, v4
	v_ceil_f32_e32 v4, v4
	v_cvt_i32_f32_e32 v7, v4
	v_mul_f32_e32 v4, s1, v5
	v_mul_f32_e32 v3, s2, v3
	;; [unrolled: 1-line block ×3, first 2 shown]
	v_ceil_f32_e32 v4, v4
	v_ceil_f32_e32 v3, v3
	v_mul_f32_e32 v8, s0, v8
	v_ceil_f32_e32 v2, v2
	v_cvt_i32_f32_e32 v5, v4
	v_cvt_i32_f32_e32 v3, v3
	v_ceil_f32_e32 v8, v8
	v_cvt_i32_f32_e32 v2, v2
	v_cvt_i32_f32_e32 v13, v8
	s_mul_i32 s31, s18, s16
	s_mul_i32 s0, s31, s15
	s_mul_hi_u32 s1, s31, s14
	s_mul_i32 s6, s23, s13
	s_mul_hi_u32 s7, s23, s12
	v_min_i32_e32 v5, s16, v5
	v_min_i32_e32 v9, s18, v3
	;; [unrolled: 1-line block ×3, first 2 shown]
	s_add_i32 s0, s1, s0
	s_mul_i32 s1, s30, s14
	s_add_i32 s6, s7, s6
	s_mul_i32 s7, s22, s12
	v_min_i32_e32 v4, s16, v7
	v_min_i32_e32 v8, s18, v12
	;; [unrolled: 1-line block ×3, first 2 shown]
	s_add_i32 s33, s0, s1
	s_mul_i32 s34, s31, s14
	v_cmp_gt_i32_e64 s[0:1], v11, v13
	v_cmp_gt_i32_e64 s[2:3], v5, v7
	;; [unrolled: 1-line block ×3, first 2 shown]
	v_ashrrev_i32_e32 v7, 31, v6
	s_add_i32 s35, s6, s7
	s_mul_i32 s36, s23, s12
	s_mov_b64 s[14:15], 0
	s_movk_i32 s37, 0x7fff
	v_mov_b32_e32 v12, 0x7fc0
	s_branch .LBB13_33
.LBB13_31:                              ;   in Loop: Header=BB13_33 Depth=1
	s_or_b64 exec, exec, s[16:17]
.LBB13_32:                              ;   in Loop: Header=BB13_33 Depth=1
	s_or_b64 exec, exec, s[6:7]
	v_bfe_u32 v2, v13, 16, 1
	v_add3_u32 v2, v13, v2, s37
	v_cmp_o_f32_e32 vcc, v13, v13
	v_cndmask_b32_sdwa v13, v12, v2, vcc dst_sel:DWORD dst_unused:UNUSED_PAD src0_sel:DWORD src1_sel:WORD_1
	v_lshlrev_b64 v[2:3], 1, v[0:1]
	v_mov_b32_e32 v14, s27
	v_add_co_u32_e32 v2, vcc, s26, v2
	v_addc_co_u32_e32 v3, vcc, v14, v3, vcc
	s_add_u32 s14, s14, 1
	global_store_short v[2:3], v13, off
	s_addc_u32 s15, s15, 0
	v_mov_b32_e32 v2, s14
	v_mov_b32_e32 v3, s15
	v_cmp_le_u64_e32 vcc, s[10:11], v[2:3]
	v_mov_b32_e32 v13, s35
	v_add_co_u32_e64 v0, s[6:7], s36, v0
	v_addc_co_u32_e64 v1, s[6:7], v1, v13, s[6:7]
	s_cbranch_vccnz .LBB13_44
.LBB13_33:                              ; =>This Loop Header: Depth=1
                                        ;     Child Loop BB13_37 Depth 2
                                        ;       Child Loop BB13_40 Depth 3
                                        ;         Child Loop BB13_42 Depth 4
	v_mov_b32_e32 v13, 0
	s_and_saveexec_b64 s[6:7], s[0:1]
	s_cbranch_execz .LBB13_32
; %bb.34:                               ;   in Loop: Header=BB13_33 Depth=1
	v_mov_b32_e32 v2, s12
	v_mad_u64_u32 v[2:3], s[16:17], s14, v2, v[6:7]
	s_mul_i32 s16, s15, s12
	s_mul_i32 s17, s14, s13
	s_add_i32 s17, s17, s16
	v_add_u32_e32 v3, s17, v3
	v_mul_lo_u32 v13, s34, v3
	v_mul_lo_u32 v14, s33, v2
	v_mad_u64_u32 v[2:3], s[16:17], s34, v2, 0
	s_mov_b64 s[16:17], 0
	v_mov_b32_e32 v16, v10
	v_add3_u32 v3, v3, v13, v14
	v_lshlrev_b64 v[2:3], 1, v[2:3]
	v_mov_b32_e32 v13, s9
	v_add_co_u32_e32 v14, vcc, s8, v2
	v_addc_co_u32_e32 v15, vcc, v13, v3, vcc
	v_mov_b32_e32 v13, 0
	s_branch .LBB13_37
.LBB13_35:                              ;   in Loop: Header=BB13_37 Depth=2
	s_or_b64 exec, exec, s[22:23]
.LBB13_36:                              ;   in Loop: Header=BB13_37 Depth=2
	s_or_b64 exec, exec, s[20:21]
	v_add_u32_e32 v16, 1, v16
	v_cmp_ge_i32_e32 vcc, v16, v11
	s_or_b64 s[16:17], vcc, s[16:17]
	s_andn2_b64 exec, exec, s[16:17]
	s_cbranch_execz .LBB13_31
.LBB13_37:                              ;   Parent Loop BB13_33 Depth=1
                                        ; =>  This Loop Header: Depth=2
                                        ;       Child Loop BB13_40 Depth 3
                                        ;         Child Loop BB13_42 Depth 4
	s_and_saveexec_b64 s[20:21], s[2:3]
	s_cbranch_execz .LBB13_36
; %bb.38:                               ;   in Loop: Header=BB13_37 Depth=2
	v_ashrrev_i32_e32 v17, 31, v16
	v_mul_lo_u32 v18, s30, v16
	v_mad_u64_u32 v[2:3], s[22:23], s31, v16, 0
	v_mul_lo_u32 v17, s31, v17
	s_mov_b64 s[22:23], 0
	v_mov_b32_e32 v19, v4
	v_add3_u32 v3, v3, v17, v18
	v_lshlrev_b64 v[2:3], 1, v[2:3]
	v_add_co_u32_e32 v17, vcc, v14, v2
	v_addc_co_u32_e32 v18, vcc, v15, v3, vcc
	s_branch .LBB13_40
.LBB13_39:                              ;   in Loop: Header=BB13_40 Depth=3
	s_or_b64 exec, exec, s[24:25]
	v_add_u32_e32 v19, 1, v19
	v_cmp_ge_i32_e32 vcc, v19, v5
	s_or_b64 s[22:23], vcc, s[22:23]
	s_andn2_b64 exec, exec, s[22:23]
	s_cbranch_execz .LBB13_35
.LBB13_40:                              ;   Parent Loop BB13_33 Depth=1
                                        ;     Parent Loop BB13_37 Depth=2
                                        ; =>    This Loop Header: Depth=3
                                        ;         Child Loop BB13_42 Depth 4
	s_and_saveexec_b64 s[24:25], s[4:5]
	s_cbranch_execz .LBB13_39
; %bb.41:                               ;   in Loop: Header=BB13_40 Depth=3
	v_ashrrev_i32_e32 v20, 31, v19
	v_mul_lo_u32 v21, s19, v19
	v_mad_u64_u32 v[2:3], s[28:29], s18, v19, 0
	v_mul_lo_u32 v20, s18, v20
	s_mov_b64 s[28:29], 0
	v_add3_u32 v3, v3, v20, v21
	v_lshlrev_b64 v[2:3], 1, v[2:3]
	v_add_co_u32_e32 v20, vcc, v17, v2
	v_addc_co_u32_e32 v21, vcc, v18, v3, vcc
	v_mov_b32_e32 v2, v8
.LBB13_42:                              ;   Parent Loop BB13_33 Depth=1
                                        ;     Parent Loop BB13_37 Depth=2
                                        ;       Parent Loop BB13_40 Depth=3
                                        ; =>      This Inner Loop Header: Depth=4
	v_ashrrev_i32_e32 v3, 31, v2
	v_lshlrev_b64 v[22:23], 1, v[2:3]
	v_add_u32_e32 v2, 1, v2
	v_add_co_u32_e32 v22, vcc, v20, v22
	v_addc_co_u32_e32 v23, vcc, v21, v23, vcc
	global_load_ushort v3, v[22:23], off
	v_cmp_ge_i32_e32 vcc, v2, v9
	s_or_b64 s[28:29], vcc, s[28:29]
	s_waitcnt vmcnt(0)
	v_lshlrev_b32_e32 v3, 16, v3
	v_add_f32_e32 v13, v13, v3
	s_andn2_b64 exec, exec, s[28:29]
	s_cbranch_execnz .LBB13_42
; %bb.43:                               ;   in Loop: Header=BB13_40 Depth=3
	s_or_b64 exec, exec, s[28:29]
	s_branch .LBB13_39
.LBB13_44:
	s_endpgm
	.section	.rodata,"a",@progbits
	.p2align	6, 0x0
	.amdhsa_kernel _ZN2at6native12_GLOBAL__N_137upsample_nearest3d_backward_out_frameIN3c108BFloat16EfXadL_ZNS0_40nearest_neighbor_bw_compute_source_indexEfiiEEEEvPKT_mmmmmmmmPS5_fff
		.amdhsa_group_segment_fixed_size 0
		.amdhsa_private_segment_fixed_size 0
		.amdhsa_kernarg_size 352
		.amdhsa_user_sgpr_count 6
		.amdhsa_user_sgpr_private_segment_buffer 1
		.amdhsa_user_sgpr_dispatch_ptr 0
		.amdhsa_user_sgpr_queue_ptr 0
		.amdhsa_user_sgpr_kernarg_segment_ptr 1
		.amdhsa_user_sgpr_dispatch_id 0
		.amdhsa_user_sgpr_flat_scratch_init 0
		.amdhsa_user_sgpr_private_segment_size 0
		.amdhsa_uses_dynamic_stack 0
		.amdhsa_system_sgpr_private_segment_wavefront_offset 0
		.amdhsa_system_sgpr_workgroup_id_x 1
		.amdhsa_system_sgpr_workgroup_id_y 0
		.amdhsa_system_sgpr_workgroup_id_z 0
		.amdhsa_system_sgpr_workgroup_info 0
		.amdhsa_system_vgpr_workitem_id 0
		.amdhsa_next_free_vgpr 24
		.amdhsa_next_free_sgpr 38
		.amdhsa_reserve_vcc 1
		.amdhsa_reserve_flat_scratch 0
		.amdhsa_float_round_mode_32 0
		.amdhsa_float_round_mode_16_64 0
		.amdhsa_float_denorm_mode_32 3
		.amdhsa_float_denorm_mode_16_64 3
		.amdhsa_dx10_clamp 1
		.amdhsa_ieee_mode 1
		.amdhsa_fp16_overflow 0
		.amdhsa_exception_fp_ieee_invalid_op 0
		.amdhsa_exception_fp_denorm_src 0
		.amdhsa_exception_fp_ieee_div_zero 0
		.amdhsa_exception_fp_ieee_overflow 0
		.amdhsa_exception_fp_ieee_underflow 0
		.amdhsa_exception_fp_ieee_inexact 0
		.amdhsa_exception_int_div_zero 0
	.end_amdhsa_kernel
	.section	.text._ZN2at6native12_GLOBAL__N_137upsample_nearest3d_backward_out_frameIN3c108BFloat16EfXadL_ZNS0_40nearest_neighbor_bw_compute_source_indexEfiiEEEEvPKT_mmmmmmmmPS5_fff,"axG",@progbits,_ZN2at6native12_GLOBAL__N_137upsample_nearest3d_backward_out_frameIN3c108BFloat16EfXadL_ZNS0_40nearest_neighbor_bw_compute_source_indexEfiiEEEEvPKT_mmmmmmmmPS5_fff,comdat
.Lfunc_end13:
	.size	_ZN2at6native12_GLOBAL__N_137upsample_nearest3d_backward_out_frameIN3c108BFloat16EfXadL_ZNS0_40nearest_neighbor_bw_compute_source_indexEfiiEEEEvPKT_mmmmmmmmPS5_fff, .Lfunc_end13-_ZN2at6native12_GLOBAL__N_137upsample_nearest3d_backward_out_frameIN3c108BFloat16EfXadL_ZNS0_40nearest_neighbor_bw_compute_source_indexEfiiEEEEvPKT_mmmmmmmmPS5_fff
                                        ; -- End function
	.set _ZN2at6native12_GLOBAL__N_137upsample_nearest3d_backward_out_frameIN3c108BFloat16EfXadL_ZNS0_40nearest_neighbor_bw_compute_source_indexEfiiEEEEvPKT_mmmmmmmmPS5_fff.num_vgpr, 24
	.set _ZN2at6native12_GLOBAL__N_137upsample_nearest3d_backward_out_frameIN3c108BFloat16EfXadL_ZNS0_40nearest_neighbor_bw_compute_source_indexEfiiEEEEvPKT_mmmmmmmmPS5_fff.num_agpr, 0
	.set _ZN2at6native12_GLOBAL__N_137upsample_nearest3d_backward_out_frameIN3c108BFloat16EfXadL_ZNS0_40nearest_neighbor_bw_compute_source_indexEfiiEEEEvPKT_mmmmmmmmPS5_fff.numbered_sgpr, 38
	.set _ZN2at6native12_GLOBAL__N_137upsample_nearest3d_backward_out_frameIN3c108BFloat16EfXadL_ZNS0_40nearest_neighbor_bw_compute_source_indexEfiiEEEEvPKT_mmmmmmmmPS5_fff.num_named_barrier, 0
	.set _ZN2at6native12_GLOBAL__N_137upsample_nearest3d_backward_out_frameIN3c108BFloat16EfXadL_ZNS0_40nearest_neighbor_bw_compute_source_indexEfiiEEEEvPKT_mmmmmmmmPS5_fff.private_seg_size, 0
	.set _ZN2at6native12_GLOBAL__N_137upsample_nearest3d_backward_out_frameIN3c108BFloat16EfXadL_ZNS0_40nearest_neighbor_bw_compute_source_indexEfiiEEEEvPKT_mmmmmmmmPS5_fff.uses_vcc, 1
	.set _ZN2at6native12_GLOBAL__N_137upsample_nearest3d_backward_out_frameIN3c108BFloat16EfXadL_ZNS0_40nearest_neighbor_bw_compute_source_indexEfiiEEEEvPKT_mmmmmmmmPS5_fff.uses_flat_scratch, 0
	.set _ZN2at6native12_GLOBAL__N_137upsample_nearest3d_backward_out_frameIN3c108BFloat16EfXadL_ZNS0_40nearest_neighbor_bw_compute_source_indexEfiiEEEEvPKT_mmmmmmmmPS5_fff.has_dyn_sized_stack, 0
	.set _ZN2at6native12_GLOBAL__N_137upsample_nearest3d_backward_out_frameIN3c108BFloat16EfXadL_ZNS0_40nearest_neighbor_bw_compute_source_indexEfiiEEEEvPKT_mmmmmmmmPS5_fff.has_recursion, 0
	.set _ZN2at6native12_GLOBAL__N_137upsample_nearest3d_backward_out_frameIN3c108BFloat16EfXadL_ZNS0_40nearest_neighbor_bw_compute_source_indexEfiiEEEEvPKT_mmmmmmmmPS5_fff.has_indirect_call, 0
	.section	.AMDGPU.csdata,"",@progbits
; Kernel info:
; codeLenInByte = 5656
; TotalNumSgprs: 42
; NumVgprs: 24
; ScratchSize: 0
; MemoryBound: 0
; FloatMode: 240
; IeeeMode: 1
; LDSByteSize: 0 bytes/workgroup (compile time only)
; SGPRBlocks: 5
; VGPRBlocks: 5
; NumSGPRsForWavesPerEU: 42
; NumVGPRsForWavesPerEU: 24
; Occupancy: 10
; WaveLimiterHint : 0
; COMPUTE_PGM_RSRC2:SCRATCH_EN: 0
; COMPUTE_PGM_RSRC2:USER_SGPR: 6
; COMPUTE_PGM_RSRC2:TRAP_HANDLER: 0
; COMPUTE_PGM_RSRC2:TGID_X_EN: 1
; COMPUTE_PGM_RSRC2:TGID_Y_EN: 0
; COMPUTE_PGM_RSRC2:TGID_Z_EN: 0
; COMPUTE_PGM_RSRC2:TIDIG_COMP_CNT: 0
	.section	.text._ZN2at6native12_GLOBAL__N_137upsample_nearest3d_backward_out_frameIhlXadL_ZNS0_40nearest_neighbor_bw_compute_source_indexEfiiEEEEvPKT_mmmmmmmmPS3_fff,"axG",@progbits,_ZN2at6native12_GLOBAL__N_137upsample_nearest3d_backward_out_frameIhlXadL_ZNS0_40nearest_neighbor_bw_compute_source_indexEfiiEEEEvPKT_mmmmmmmmPS3_fff,comdat
	.globl	_ZN2at6native12_GLOBAL__N_137upsample_nearest3d_backward_out_frameIhlXadL_ZNS0_40nearest_neighbor_bw_compute_source_indexEfiiEEEEvPKT_mmmmmmmmPS3_fff ; -- Begin function _ZN2at6native12_GLOBAL__N_137upsample_nearest3d_backward_out_frameIhlXadL_ZNS0_40nearest_neighbor_bw_compute_source_indexEfiiEEEEvPKT_mmmmmmmmPS3_fff
	.p2align	8
	.type	_ZN2at6native12_GLOBAL__N_137upsample_nearest3d_backward_out_frameIhlXadL_ZNS0_40nearest_neighbor_bw_compute_source_indexEfiiEEEEvPKT_mmmmmmmmPS3_fff,@function
_ZN2at6native12_GLOBAL__N_137upsample_nearest3d_backward_out_frameIhlXadL_ZNS0_40nearest_neighbor_bw_compute_source_indexEfiiEEEEvPKT_mmmmmmmmPS3_fff: ; @_ZN2at6native12_GLOBAL__N_137upsample_nearest3d_backward_out_frameIhlXadL_ZNS0_40nearest_neighbor_bw_compute_source_indexEfiiEEEEvPKT_mmmmmmmmPS3_fff
; %bb.0:
	s_load_dword s0, s[4:5], 0x6c
	s_load_dwordx4 s[24:27], s[4:5], 0x40
	s_load_dwordx16 s[8:23], s[4:5], 0x0
	v_mov_b32_e32 v2, 0
	v_mov_b32_e32 v1, v2
	s_waitcnt lgkmcnt(0)
	s_and_b32 s0, s0, 0xffff
	v_mov_b32_e32 v3, s6
	v_mad_u64_u32 v[0:1], s[0:1], s0, v3, v[0:1]
	s_mul_i32 s0, s22, s21
	s_mul_hi_u32 s1, s22, s20
	s_add_i32 s7, s1, s0
	s_mul_i32 s0, s23, s20
	s_mul_i32 s6, s22, s20
	s_add_i32 s7, s7, s0
	s_mul_i32 s0, s6, s13
	s_mul_hi_u32 s1, s6, s12
	s_add_i32 s0, s1, s0
	s_mul_i32 s1, s7, s12
	s_mul_i32 s2, s6, s12
	s_add_i32 s0, s0, s1
	s_mul_i32 s1, s2, s25
	s_mul_hi_u32 s3, s2, s24
	s_mul_i32 s0, s0, s24
	s_add_i32 s1, s3, s1
	s_add_i32 s1, s1, s0
	s_mul_i32 s0, s2, s24
	v_cmp_gt_u64_e32 vcc, s[0:1], v[0:1]
	s_and_saveexec_b64 s[0:1], vcc
	s_cbranch_execz .LBB14_44
; %bb.1:
	v_or_b32_e32 v3, s23, v1
	v_cmp_ne_u64_e32 vcc, 0, v[2:3]
                                        ; implicit-def: $vgpr2_vgpr3
	s_and_saveexec_b64 s[0:1], vcc
	s_xor_b64 s[2:3], exec, s[0:1]
	s_cbranch_execz .LBB14_3
; %bb.2:
	v_cvt_f32_u32_e32 v2, s22
	v_cvt_f32_u32_e32 v3, s23
	s_sub_u32 s28, 0, s22
	s_subb_u32 s29, 0, s23
	v_madmk_f32 v2, v3, 0x4f800000, v2
	v_rcp_f32_e32 v2, v2
	v_mul_f32_e32 v2, 0x5f7ffffc, v2
	v_mul_f32_e32 v3, 0x2f800000, v2
	v_trunc_f32_e32 v3, v3
	v_madmk_f32 v2, v3, 0xcf800000, v2
	v_cvt_u32_f32_e32 v3, v3
	v_cvt_u32_f32_e32 v2, v2
	v_readfirstlane_b32 s30, v3
	v_readfirstlane_b32 s0, v2
	s_mul_i32 s1, s28, s30
	s_mul_hi_u32 s33, s28, s0
	s_mul_i32 s31, s29, s0
	s_add_i32 s1, s33, s1
	s_mul_i32 s34, s28, s0
	s_add_i32 s1, s1, s31
	s_mul_i32 s33, s0, s1
	s_mul_hi_u32 s35, s0, s34
	s_mul_hi_u32 s31, s0, s1
	s_add_u32 s33, s35, s33
	s_addc_u32 s31, 0, s31
	s_mul_hi_u32 s36, s30, s34
	s_mul_i32 s34, s30, s34
	s_add_u32 s33, s33, s34
	s_mul_hi_u32 s35, s30, s1
	s_addc_u32 s31, s31, s36
	s_addc_u32 s33, s35, 0
	s_mul_i32 s1, s30, s1
	s_add_u32 s1, s31, s1
	s_addc_u32 s31, 0, s33
	s_add_u32 s33, s0, s1
	s_cselect_b64 s[0:1], -1, 0
	s_cmp_lg_u64 s[0:1], 0
	s_addc_u32 s30, s30, s31
	s_mul_i32 s0, s28, s30
	s_mul_hi_u32 s1, s28, s33
	s_add_i32 s0, s1, s0
	s_mul_i32 s29, s29, s33
	s_add_i32 s0, s0, s29
	s_mul_i32 s28, s28, s33
	s_mul_hi_u32 s29, s30, s28
	s_mul_i32 s31, s30, s28
	s_mul_i32 s35, s33, s0
	s_mul_hi_u32 s28, s33, s28
	s_mul_hi_u32 s34, s33, s0
	s_add_u32 s28, s28, s35
	s_addc_u32 s34, 0, s34
	s_add_u32 s28, s28, s31
	s_mul_hi_u32 s1, s30, s0
	s_addc_u32 s28, s34, s29
	s_addc_u32 s1, s1, 0
	s_mul_i32 s0, s30, s0
	s_add_u32 s0, s28, s0
	s_addc_u32 s28, 0, s1
	s_add_u32 s29, s33, s0
	s_cselect_b64 s[0:1], -1, 0
	s_cmp_lg_u64 s[0:1], 0
	s_addc_u32 s28, s30, s28
	v_mad_u64_u32 v[2:3], s[0:1], v0, s28, 0
	v_mul_hi_u32 v4, v0, s29
	v_add_co_u32_e32 v6, vcc, v4, v2
	v_addc_co_u32_e32 v7, vcc, 0, v3, vcc
	v_mad_u64_u32 v[2:3], s[0:1], v1, s29, 0
	v_mad_u64_u32 v[4:5], s[0:1], v1, s28, 0
	v_add_co_u32_e32 v2, vcc, v6, v2
	v_addc_co_u32_e32 v2, vcc, v7, v3, vcc
	v_addc_co_u32_e32 v3, vcc, 0, v5, vcc
	v_add_co_u32_e32 v4, vcc, v2, v4
	v_addc_co_u32_e32 v5, vcc, 0, v3, vcc
	v_mul_lo_u32 v6, s23, v4
	v_mul_lo_u32 v7, s22, v5
	v_mad_u64_u32 v[2:3], s[0:1], s22, v4, 0
	v_add3_u32 v3, v3, v7, v6
	v_sub_u32_e32 v6, v1, v3
	v_mov_b32_e32 v7, s23
	v_sub_co_u32_e32 v2, vcc, v0, v2
	v_subb_co_u32_e64 v6, s[0:1], v6, v7, vcc
	v_subrev_co_u32_e64 v7, s[0:1], s22, v2
	v_subbrev_co_u32_e64 v6, s[0:1], 0, v6, s[0:1]
	v_cmp_le_u32_e64 s[0:1], s23, v6
	v_cndmask_b32_e64 v8, 0, -1, s[0:1]
	v_cmp_le_u32_e64 s[0:1], s22, v7
	v_cndmask_b32_e64 v7, 0, -1, s[0:1]
	v_cmp_eq_u32_e64 s[0:1], s23, v6
	v_cndmask_b32_e64 v6, v8, v7, s[0:1]
	v_add_co_u32_e64 v7, s[0:1], 2, v4
	v_addc_co_u32_e64 v8, s[0:1], 0, v5, s[0:1]
	v_add_co_u32_e64 v9, s[0:1], 1, v4
	v_addc_co_u32_e64 v10, s[0:1], 0, v5, s[0:1]
	v_subb_co_u32_e32 v3, vcc, v1, v3, vcc
	v_cmp_ne_u32_e64 s[0:1], 0, v6
	v_cmp_le_u32_e32 vcc, s23, v3
	v_cndmask_b32_e64 v6, v10, v8, s[0:1]
	v_cndmask_b32_e64 v8, 0, -1, vcc
	v_cmp_le_u32_e32 vcc, s22, v2
	v_cndmask_b32_e64 v2, 0, -1, vcc
	v_cmp_eq_u32_e32 vcc, s23, v3
	v_cndmask_b32_e32 v2, v8, v2, vcc
	v_cmp_ne_u32_e32 vcc, 0, v2
	v_cndmask_b32_e64 v2, v9, v7, s[0:1]
	v_cndmask_b32_e32 v3, v5, v6, vcc
	v_cndmask_b32_e32 v2, v4, v2, vcc
.LBB14_3:
	s_andn2_saveexec_b64 s[0:1], s[2:3]
	s_cbranch_execz .LBB14_5
; %bb.4:
	v_cvt_f32_u32_e32 v2, s22
	s_sub_i32 s2, 0, s22
	v_rcp_iflag_f32_e32 v2, v2
	v_mul_f32_e32 v2, 0x4f7ffffe, v2
	v_cvt_u32_f32_e32 v2, v2
	v_mul_lo_u32 v3, s2, v2
	v_mul_hi_u32 v3, v2, v3
	v_add_u32_e32 v2, v2, v3
	v_mul_hi_u32 v2, v0, v2
	v_mul_lo_u32 v3, v2, s22
	v_add_u32_e32 v4, 1, v2
	v_sub_u32_e32 v3, v0, v3
	v_subrev_u32_e32 v5, s22, v3
	v_cmp_le_u32_e32 vcc, s22, v3
	v_cndmask_b32_e32 v3, v3, v5, vcc
	v_cndmask_b32_e32 v2, v2, v4, vcc
	v_add_u32_e32 v4, 1, v2
	v_cmp_le_u32_e32 vcc, s22, v3
	v_cndmask_b32_e32 v2, v2, v4, vcc
	v_mov_b32_e32 v3, 0
.LBB14_5:
	s_or_b64 exec, exec, s[0:1]
	v_or_b32_e32 v5, s25, v3
	v_mov_b32_e32 v4, 0
	v_cmp_ne_u64_e32 vcc, 0, v[4:5]
                                        ; implicit-def: $vgpr4_vgpr5
	s_and_saveexec_b64 s[0:1], vcc
	s_xor_b64 s[2:3], exec, s[0:1]
	s_cbranch_execz .LBB14_7
; %bb.6:
	v_cvt_f32_u32_e32 v4, s24
	v_cvt_f32_u32_e32 v5, s25
	s_sub_u32 s28, 0, s24
	s_subb_u32 s29, 0, s25
	v_madmk_f32 v4, v5, 0x4f800000, v4
	v_rcp_f32_e32 v4, v4
	v_mul_f32_e32 v4, 0x5f7ffffc, v4
	v_mul_f32_e32 v5, 0x2f800000, v4
	v_trunc_f32_e32 v5, v5
	v_madmk_f32 v4, v5, 0xcf800000, v4
	v_cvt_u32_f32_e32 v5, v5
	v_cvt_u32_f32_e32 v4, v4
	v_readfirstlane_b32 s30, v5
	v_readfirstlane_b32 s0, v4
	s_mul_i32 s1, s28, s30
	s_mul_hi_u32 s33, s28, s0
	s_mul_i32 s31, s29, s0
	s_add_i32 s1, s33, s1
	s_mul_i32 s34, s28, s0
	s_add_i32 s1, s1, s31
	s_mul_i32 s33, s0, s1
	s_mul_hi_u32 s35, s0, s34
	s_mul_hi_u32 s31, s0, s1
	s_add_u32 s33, s35, s33
	s_addc_u32 s31, 0, s31
	s_mul_hi_u32 s36, s30, s34
	s_mul_i32 s34, s30, s34
	s_add_u32 s33, s33, s34
	s_mul_hi_u32 s35, s30, s1
	s_addc_u32 s31, s31, s36
	s_addc_u32 s33, s35, 0
	s_mul_i32 s1, s30, s1
	s_add_u32 s1, s31, s1
	s_addc_u32 s31, 0, s33
	s_add_u32 s33, s0, s1
	s_cselect_b64 s[0:1], -1, 0
	s_cmp_lg_u64 s[0:1], 0
	s_addc_u32 s30, s30, s31
	s_mul_i32 s0, s28, s30
	s_mul_hi_u32 s1, s28, s33
	s_add_i32 s0, s1, s0
	s_mul_i32 s29, s29, s33
	s_add_i32 s0, s0, s29
	s_mul_i32 s28, s28, s33
	s_mul_hi_u32 s29, s30, s28
	s_mul_i32 s31, s30, s28
	s_mul_i32 s35, s33, s0
	s_mul_hi_u32 s28, s33, s28
	s_mul_hi_u32 s34, s33, s0
	s_add_u32 s28, s28, s35
	s_addc_u32 s34, 0, s34
	s_add_u32 s28, s28, s31
	s_mul_hi_u32 s1, s30, s0
	s_addc_u32 s28, s34, s29
	s_addc_u32 s1, s1, 0
	s_mul_i32 s0, s30, s0
	s_add_u32 s0, s28, s0
	s_addc_u32 s28, 0, s1
	s_add_u32 s29, s33, s0
	s_cselect_b64 s[0:1], -1, 0
	s_cmp_lg_u64 s[0:1], 0
	s_addc_u32 s28, s30, s28
	v_mad_u64_u32 v[4:5], s[0:1], v2, s28, 0
	v_mul_hi_u32 v6, v2, s29
	v_add_co_u32_e32 v8, vcc, v6, v4
	v_addc_co_u32_e32 v9, vcc, 0, v5, vcc
	v_mad_u64_u32 v[4:5], s[0:1], v3, s29, 0
	v_mad_u64_u32 v[6:7], s[0:1], v3, s28, 0
	v_add_co_u32_e32 v4, vcc, v8, v4
	v_addc_co_u32_e32 v4, vcc, v9, v5, vcc
	v_addc_co_u32_e32 v5, vcc, 0, v7, vcc
	v_add_co_u32_e32 v6, vcc, v4, v6
	v_addc_co_u32_e32 v7, vcc, 0, v5, vcc
	v_mul_lo_u32 v8, s25, v6
	v_mul_lo_u32 v9, s24, v7
	v_mad_u64_u32 v[4:5], s[0:1], s24, v6, 0
	v_add3_u32 v5, v5, v9, v8
	v_sub_u32_e32 v8, v3, v5
	v_mov_b32_e32 v9, s25
	v_sub_co_u32_e32 v2, vcc, v2, v4
	v_subb_co_u32_e64 v4, s[0:1], v8, v9, vcc
	v_subrev_co_u32_e64 v8, s[0:1], s24, v2
	v_subbrev_co_u32_e64 v4, s[0:1], 0, v4, s[0:1]
	v_cmp_le_u32_e64 s[0:1], s25, v4
	v_cndmask_b32_e64 v9, 0, -1, s[0:1]
	v_cmp_le_u32_e64 s[0:1], s24, v8
	v_cndmask_b32_e64 v8, 0, -1, s[0:1]
	v_cmp_eq_u32_e64 s[0:1], s25, v4
	v_cndmask_b32_e64 v4, v9, v8, s[0:1]
	v_add_co_u32_e64 v8, s[0:1], 2, v6
	v_subb_co_u32_e32 v3, vcc, v3, v5, vcc
	v_addc_co_u32_e64 v9, s[0:1], 0, v7, s[0:1]
	v_cmp_le_u32_e32 vcc, s25, v3
	v_add_co_u32_e64 v10, s[0:1], 1, v6
	v_cndmask_b32_e64 v5, 0, -1, vcc
	v_cmp_le_u32_e32 vcc, s24, v2
	v_addc_co_u32_e64 v11, s[0:1], 0, v7, s[0:1]
	v_cndmask_b32_e64 v2, 0, -1, vcc
	v_cmp_eq_u32_e32 vcc, s25, v3
	v_cmp_ne_u32_e64 s[0:1], 0, v4
	v_cndmask_b32_e32 v2, v5, v2, vcc
	v_cndmask_b32_e64 v4, v11, v9, s[0:1]
	v_cmp_ne_u32_e32 vcc, 0, v2
	v_cndmask_b32_e64 v2, v10, v8, s[0:1]
	v_cndmask_b32_e32 v5, v7, v4, vcc
	v_cndmask_b32_e32 v4, v6, v2, vcc
                                        ; implicit-def: $vgpr2_vgpr3
.LBB14_7:
	s_andn2_saveexec_b64 s[0:1], s[2:3]
	s_cbranch_execz .LBB14_9
; %bb.8:
	v_cvt_f32_u32_e32 v3, s24
	s_sub_i32 s2, 0, s24
	v_rcp_iflag_f32_e32 v3, v3
	v_mul_f32_e32 v3, 0x4f7ffffe, v3
	v_cvt_u32_f32_e32 v3, v3
	v_mul_lo_u32 v4, s2, v3
	v_mul_hi_u32 v4, v3, v4
	v_add_u32_e32 v3, v3, v4
	v_mul_hi_u32 v3, v2, v3
	v_mul_lo_u32 v4, v3, s24
	v_add_u32_e32 v5, 1, v3
	v_sub_u32_e32 v2, v2, v4
	v_subrev_u32_e32 v4, s24, v2
	v_cmp_le_u32_e32 vcc, s24, v2
	v_cndmask_b32_e32 v2, v2, v4, vcc
	v_cndmask_b32_e32 v3, v3, v5, vcc
	v_add_u32_e32 v4, 1, v3
	v_cmp_le_u32_e32 vcc, s24, v2
	v_cndmask_b32_e32 v4, v3, v4, vcc
	v_mov_b32_e32 v5, 0
.LBB14_9:
	s_or_b64 exec, exec, s[0:1]
	v_or_b32_e32 v3, s21, v5
	v_mov_b32_e32 v2, 0
	v_cmp_ne_u64_e32 vcc, 0, v[2:3]
                                        ; implicit-def: $vgpr2_vgpr3
	s_and_saveexec_b64 s[0:1], vcc
	s_xor_b64 s[2:3], exec, s[0:1]
	s_cbranch_execz .LBB14_11
; %bb.10:
	v_cvt_f32_u32_e32 v2, s20
	v_cvt_f32_u32_e32 v3, s21
	s_sub_u32 s28, 0, s20
	s_subb_u32 s29, 0, s21
	v_madmk_f32 v2, v3, 0x4f800000, v2
	v_rcp_f32_e32 v2, v2
	v_mul_f32_e32 v2, 0x5f7ffffc, v2
	v_mul_f32_e32 v3, 0x2f800000, v2
	v_trunc_f32_e32 v3, v3
	v_madmk_f32 v2, v3, 0xcf800000, v2
	v_cvt_u32_f32_e32 v3, v3
	v_cvt_u32_f32_e32 v2, v2
	v_readfirstlane_b32 s30, v3
	v_readfirstlane_b32 s0, v2
	s_mul_i32 s1, s28, s30
	s_mul_hi_u32 s33, s28, s0
	s_mul_i32 s31, s29, s0
	s_add_i32 s1, s33, s1
	s_mul_i32 s34, s28, s0
	s_add_i32 s1, s1, s31
	s_mul_i32 s33, s0, s1
	s_mul_hi_u32 s35, s0, s34
	s_mul_hi_u32 s31, s0, s1
	s_add_u32 s33, s35, s33
	s_addc_u32 s31, 0, s31
	s_mul_hi_u32 s36, s30, s34
	s_mul_i32 s34, s30, s34
	s_add_u32 s33, s33, s34
	s_mul_hi_u32 s35, s30, s1
	s_addc_u32 s31, s31, s36
	s_addc_u32 s33, s35, 0
	s_mul_i32 s1, s30, s1
	s_add_u32 s1, s31, s1
	s_addc_u32 s31, 0, s33
	s_add_u32 s33, s0, s1
	s_cselect_b64 s[0:1], -1, 0
	s_cmp_lg_u64 s[0:1], 0
	s_addc_u32 s30, s30, s31
	s_mul_i32 s0, s28, s30
	s_mul_hi_u32 s1, s28, s33
	s_add_i32 s0, s1, s0
	s_mul_i32 s29, s29, s33
	s_add_i32 s0, s0, s29
	s_mul_i32 s28, s28, s33
	s_mul_hi_u32 s29, s30, s28
	s_mul_i32 s31, s30, s28
	s_mul_i32 s35, s33, s0
	s_mul_hi_u32 s28, s33, s28
	s_mul_hi_u32 s34, s33, s0
	s_add_u32 s28, s28, s35
	s_addc_u32 s34, 0, s34
	s_add_u32 s28, s28, s31
	s_mul_hi_u32 s1, s30, s0
	s_addc_u32 s28, s34, s29
	s_addc_u32 s1, s1, 0
	s_mul_i32 s0, s30, s0
	s_add_u32 s0, s28, s0
	s_addc_u32 s28, 0, s1
	s_add_u32 s29, s33, s0
	s_cselect_b64 s[0:1], -1, 0
	s_cmp_lg_u64 s[0:1], 0
	s_addc_u32 s28, s30, s28
	v_mad_u64_u32 v[2:3], s[0:1], v4, s28, 0
	v_mul_hi_u32 v6, v4, s29
	v_add_co_u32_e32 v8, vcc, v6, v2
	v_addc_co_u32_e32 v9, vcc, 0, v3, vcc
	v_mad_u64_u32 v[2:3], s[0:1], v5, s29, 0
	v_mad_u64_u32 v[6:7], s[0:1], v5, s28, 0
	v_add_co_u32_e32 v2, vcc, v8, v2
	v_addc_co_u32_e32 v2, vcc, v9, v3, vcc
	v_addc_co_u32_e32 v3, vcc, 0, v7, vcc
	v_add_co_u32_e32 v2, vcc, v2, v6
	v_addc_co_u32_e32 v3, vcc, 0, v3, vcc
	v_mul_lo_u32 v6, s21, v2
	v_mul_lo_u32 v7, s20, v3
	v_mad_u64_u32 v[2:3], s[0:1], s20, v2, 0
	v_add3_u32 v3, v3, v7, v6
	v_sub_u32_e32 v6, v5, v3
	v_mov_b32_e32 v7, s21
	v_sub_co_u32_e32 v2, vcc, v4, v2
	v_subb_co_u32_e64 v4, s[0:1], v6, v7, vcc
	v_subrev_co_u32_e64 v6, s[0:1], s20, v2
	v_subbrev_co_u32_e64 v4, s[0:1], 0, v4, s[0:1]
	v_cmp_le_u32_e64 s[0:1], s21, v4
	v_subb_co_u32_e32 v3, vcc, v5, v3, vcc
	v_cndmask_b32_e64 v7, 0, -1, s[0:1]
	v_cmp_le_u32_e64 s[0:1], s20, v6
	v_cmp_le_u32_e32 vcc, s21, v3
	v_cndmask_b32_e64 v8, 0, -1, s[0:1]
	v_cmp_eq_u32_e64 s[0:1], s21, v4
	v_cndmask_b32_e64 v5, 0, -1, vcc
	v_cmp_le_u32_e32 vcc, s20, v2
	v_cndmask_b32_e64 v4, v7, v8, s[0:1]
	v_cndmask_b32_e64 v8, 0, -1, vcc
	v_cmp_eq_u32_e32 vcc, s21, v3
	v_subrev_co_u32_e64 v7, s[0:1], s20, v6
	v_cndmask_b32_e32 v3, v5, v8, vcc
	v_cmp_ne_u32_e32 vcc, 0, v4
	v_cndmask_b32_e32 v4, v6, v7, vcc
	v_cmp_ne_u32_e32 vcc, 0, v3
	v_cndmask_b32_e32 v2, v2, v4, vcc
                                        ; implicit-def: $vgpr4_vgpr5
.LBB14_11:
	s_andn2_saveexec_b64 s[0:1], s[2:3]
	s_cbranch_execz .LBB14_13
; %bb.12:
	v_cvt_f32_u32_e32 v2, s20
	s_sub_i32 s2, 0, s20
	v_rcp_iflag_f32_e32 v2, v2
	v_mul_f32_e32 v2, 0x4f7ffffe, v2
	v_cvt_u32_f32_e32 v2, v2
	v_mul_lo_u32 v3, s2, v2
	v_mul_hi_u32 v3, v2, v3
	v_add_u32_e32 v2, v2, v3
	v_mul_hi_u32 v2, v4, v2
	v_mul_lo_u32 v2, v2, s20
	v_sub_u32_e32 v2, v4, v2
	v_subrev_u32_e32 v3, s20, v2
	v_cmp_le_u32_e32 vcc, s20, v2
	v_cndmask_b32_e32 v2, v2, v3, vcc
	v_subrev_u32_e32 v3, s20, v2
	v_cmp_le_u32_e32 vcc, s20, v2
	v_cndmask_b32_e32 v2, v2, v3, vcc
.LBB14_13:
	s_or_b64 exec, exec, s[0:1]
	v_or_b32_e32 v4, s25, v1
	v_mov_b32_e32 v3, 0
	v_cmp_ne_u64_e32 vcc, 0, v[3:4]
                                        ; implicit-def: $vgpr3_vgpr4
	s_and_saveexec_b64 s[0:1], vcc
	s_xor_b64 s[2:3], exec, s[0:1]
	s_cbranch_execz .LBB14_15
; %bb.14:
	v_cvt_f32_u32_e32 v3, s24
	v_cvt_f32_u32_e32 v4, s25
	s_sub_u32 s20, 0, s24
	s_subb_u32 s21, 0, s25
	v_madmk_f32 v3, v4, 0x4f800000, v3
	v_rcp_f32_e32 v3, v3
	v_mul_f32_e32 v3, 0x5f7ffffc, v3
	v_mul_f32_e32 v4, 0x2f800000, v3
	v_trunc_f32_e32 v4, v4
	v_madmk_f32 v3, v4, 0xcf800000, v3
	v_cvt_u32_f32_e32 v4, v4
	v_cvt_u32_f32_e32 v3, v3
	v_readfirstlane_b32 s28, v4
	v_readfirstlane_b32 s0, v3
	s_mul_i32 s1, s20, s28
	s_mul_hi_u32 s30, s20, s0
	s_mul_i32 s29, s21, s0
	s_add_i32 s1, s30, s1
	s_mul_i32 s31, s20, s0
	s_add_i32 s1, s1, s29
	s_mul_i32 s30, s0, s1
	s_mul_hi_u32 s33, s0, s31
	s_mul_hi_u32 s29, s0, s1
	s_add_u32 s30, s33, s30
	s_addc_u32 s29, 0, s29
	s_mul_hi_u32 s34, s28, s31
	s_mul_i32 s31, s28, s31
	s_add_u32 s30, s30, s31
	s_mul_hi_u32 s33, s28, s1
	s_addc_u32 s29, s29, s34
	s_addc_u32 s30, s33, 0
	s_mul_i32 s1, s28, s1
	s_add_u32 s1, s29, s1
	s_addc_u32 s29, 0, s30
	s_add_u32 s30, s0, s1
	s_cselect_b64 s[0:1], -1, 0
	s_cmp_lg_u64 s[0:1], 0
	s_addc_u32 s28, s28, s29
	s_mul_i32 s0, s20, s28
	s_mul_hi_u32 s1, s20, s30
	s_add_i32 s0, s1, s0
	s_mul_i32 s21, s21, s30
	s_add_i32 s0, s0, s21
	s_mul_i32 s20, s20, s30
	s_mul_hi_u32 s21, s28, s20
	s_mul_i32 s29, s28, s20
	s_mul_i32 s33, s30, s0
	s_mul_hi_u32 s20, s30, s20
	s_mul_hi_u32 s31, s30, s0
	s_add_u32 s20, s20, s33
	s_addc_u32 s31, 0, s31
	s_add_u32 s20, s20, s29
	s_mul_hi_u32 s1, s28, s0
	s_addc_u32 s20, s31, s21
	s_addc_u32 s1, s1, 0
	s_mul_i32 s0, s28, s0
	s_add_u32 s0, s20, s0
	s_addc_u32 s20, 0, s1
	s_add_u32 s21, s30, s0
	s_cselect_b64 s[0:1], -1, 0
	s_cmp_lg_u64 s[0:1], 0
	s_addc_u32 s20, s28, s20
	v_mad_u64_u32 v[3:4], s[0:1], v0, s20, 0
	v_mul_hi_u32 v5, v0, s21
	v_add_co_u32_e32 v7, vcc, v5, v3
	v_addc_co_u32_e32 v8, vcc, 0, v4, vcc
	v_mad_u64_u32 v[3:4], s[0:1], v1, s21, 0
	v_mad_u64_u32 v[5:6], s[0:1], v1, s20, 0
	v_add_co_u32_e32 v3, vcc, v7, v3
	v_addc_co_u32_e32 v3, vcc, v8, v4, vcc
	v_addc_co_u32_e32 v4, vcc, 0, v6, vcc
	v_add_co_u32_e32 v5, vcc, v3, v5
	v_addc_co_u32_e32 v6, vcc, 0, v4, vcc
	v_mul_lo_u32 v7, s25, v5
	v_mul_lo_u32 v8, s24, v6
	v_mad_u64_u32 v[3:4], s[0:1], s24, v5, 0
	v_add3_u32 v4, v4, v8, v7
	v_sub_u32_e32 v7, v1, v4
	v_mov_b32_e32 v8, s25
	v_sub_co_u32_e32 v3, vcc, v0, v3
	v_subb_co_u32_e64 v7, s[0:1], v7, v8, vcc
	v_subrev_co_u32_e64 v8, s[0:1], s24, v3
	v_subbrev_co_u32_e64 v7, s[0:1], 0, v7, s[0:1]
	v_cmp_le_u32_e64 s[0:1], s25, v7
	v_cndmask_b32_e64 v9, 0, -1, s[0:1]
	v_cmp_le_u32_e64 s[0:1], s24, v8
	v_cndmask_b32_e64 v8, 0, -1, s[0:1]
	v_cmp_eq_u32_e64 s[0:1], s25, v7
	v_cndmask_b32_e64 v7, v9, v8, s[0:1]
	v_add_co_u32_e64 v8, s[0:1], 2, v5
	v_addc_co_u32_e64 v9, s[0:1], 0, v6, s[0:1]
	v_add_co_u32_e64 v10, s[0:1], 1, v5
	v_addc_co_u32_e64 v11, s[0:1], 0, v6, s[0:1]
	v_subb_co_u32_e32 v4, vcc, v1, v4, vcc
	v_cmp_ne_u32_e64 s[0:1], 0, v7
	v_cmp_le_u32_e32 vcc, s25, v4
	v_cndmask_b32_e64 v7, v11, v9, s[0:1]
	v_cndmask_b32_e64 v9, 0, -1, vcc
	v_cmp_le_u32_e32 vcc, s24, v3
	v_cndmask_b32_e64 v3, 0, -1, vcc
	v_cmp_eq_u32_e32 vcc, s25, v4
	v_cndmask_b32_e32 v3, v9, v3, vcc
	v_cmp_ne_u32_e32 vcc, 0, v3
	v_cndmask_b32_e64 v3, v10, v8, s[0:1]
	v_cndmask_b32_e32 v4, v6, v7, vcc
	v_cndmask_b32_e32 v3, v5, v3, vcc
.LBB14_15:
	s_andn2_saveexec_b64 s[0:1], s[2:3]
	s_cbranch_execz .LBB14_17
; %bb.16:
	v_cvt_f32_u32_e32 v3, s24
	s_sub_i32 s2, 0, s24
	v_rcp_iflag_f32_e32 v3, v3
	v_mul_f32_e32 v3, 0x4f7ffffe, v3
	v_cvt_u32_f32_e32 v3, v3
	v_mul_lo_u32 v4, s2, v3
	v_mul_hi_u32 v4, v3, v4
	v_add_u32_e32 v3, v3, v4
	v_mul_hi_u32 v3, v0, v3
	v_mul_lo_u32 v4, v3, s24
	v_add_u32_e32 v5, 1, v3
	v_sub_u32_e32 v4, v0, v4
	v_subrev_u32_e32 v6, s24, v4
	v_cmp_le_u32_e32 vcc, s24, v4
	v_cndmask_b32_e32 v4, v4, v6, vcc
	v_cndmask_b32_e32 v3, v3, v5, vcc
	v_add_u32_e32 v5, 1, v3
	v_cmp_le_u32_e32 vcc, s24, v4
	v_cndmask_b32_e32 v3, v3, v5, vcc
	v_mov_b32_e32 v4, 0
.LBB14_17:
	s_or_b64 exec, exec, s[0:1]
	v_or_b32_e32 v6, s23, v4
	v_mov_b32_e32 v5, 0
	v_cmp_ne_u64_e32 vcc, 0, v[5:6]
                                        ; implicit-def: $vgpr5_vgpr6
	s_and_saveexec_b64 s[0:1], vcc
	s_xor_b64 s[2:3], exec, s[0:1]
	s_cbranch_execnz .LBB14_20
; %bb.18:
	s_andn2_saveexec_b64 s[0:1], s[2:3]
	s_cbranch_execnz .LBB14_21
.LBB14_19:
	s_or_b64 exec, exec, s[0:1]
	s_cmp_eq_u64 s[10:11], 0
	s_cbranch_scc0 .LBB14_22
	s_branch .LBB14_44
.LBB14_20:
	v_cvt_f32_u32_e32 v5, s22
	v_cvt_f32_u32_e32 v6, s23
	s_sub_u32 s20, 0, s22
	s_subb_u32 s21, 0, s23
	v_madmk_f32 v5, v6, 0x4f800000, v5
	v_rcp_f32_e32 v5, v5
	v_mul_f32_e32 v5, 0x5f7ffffc, v5
	v_mul_f32_e32 v6, 0x2f800000, v5
	v_trunc_f32_e32 v6, v6
	v_madmk_f32 v5, v6, 0xcf800000, v5
	v_cvt_u32_f32_e32 v6, v6
	v_cvt_u32_f32_e32 v5, v5
	v_readfirstlane_b32 s28, v6
	v_readfirstlane_b32 s0, v5
	s_mul_i32 s1, s20, s28
	s_mul_hi_u32 s30, s20, s0
	s_mul_i32 s29, s21, s0
	s_add_i32 s1, s30, s1
	s_mul_i32 s31, s20, s0
	s_add_i32 s1, s1, s29
	s_mul_i32 s30, s0, s1
	s_mul_hi_u32 s33, s0, s31
	s_mul_hi_u32 s29, s0, s1
	s_add_u32 s30, s33, s30
	s_addc_u32 s29, 0, s29
	s_mul_hi_u32 s34, s28, s31
	s_mul_i32 s31, s28, s31
	s_add_u32 s30, s30, s31
	s_mul_hi_u32 s33, s28, s1
	s_addc_u32 s29, s29, s34
	s_addc_u32 s30, s33, 0
	s_mul_i32 s1, s28, s1
	s_add_u32 s1, s29, s1
	s_addc_u32 s29, 0, s30
	s_add_u32 s30, s0, s1
	s_cselect_b64 s[0:1], -1, 0
	s_cmp_lg_u64 s[0:1], 0
	s_addc_u32 s28, s28, s29
	s_mul_i32 s0, s20, s28
	s_mul_hi_u32 s1, s20, s30
	s_add_i32 s0, s1, s0
	s_mul_i32 s21, s21, s30
	s_add_i32 s0, s0, s21
	s_mul_i32 s20, s20, s30
	s_mul_hi_u32 s21, s28, s20
	s_mul_i32 s29, s28, s20
	s_mul_i32 s33, s30, s0
	s_mul_hi_u32 s20, s30, s20
	s_mul_hi_u32 s31, s30, s0
	s_add_u32 s20, s20, s33
	s_addc_u32 s31, 0, s31
	s_add_u32 s20, s20, s29
	s_mul_hi_u32 s1, s28, s0
	s_addc_u32 s20, s31, s21
	s_addc_u32 s1, s1, 0
	s_mul_i32 s0, s28, s0
	s_add_u32 s0, s20, s0
	s_addc_u32 s20, 0, s1
	s_add_u32 s21, s30, s0
	s_cselect_b64 s[0:1], -1, 0
	s_cmp_lg_u64 s[0:1], 0
	s_addc_u32 s20, s28, s20
	v_mad_u64_u32 v[5:6], s[0:1], v3, s20, 0
	v_mul_hi_u32 v7, v3, s21
	v_add_co_u32_e32 v9, vcc, v7, v5
	v_addc_co_u32_e32 v10, vcc, 0, v6, vcc
	v_mad_u64_u32 v[5:6], s[0:1], v4, s21, 0
	v_mad_u64_u32 v[7:8], s[0:1], v4, s20, 0
	v_add_co_u32_e32 v5, vcc, v9, v5
	v_addc_co_u32_e32 v5, vcc, v10, v6, vcc
	v_addc_co_u32_e32 v6, vcc, 0, v8, vcc
	v_add_co_u32_e32 v5, vcc, v5, v7
	v_addc_co_u32_e32 v6, vcc, 0, v6, vcc
	v_mul_lo_u32 v7, s23, v5
	v_mul_lo_u32 v8, s22, v6
	v_mad_u64_u32 v[5:6], s[0:1], s22, v5, 0
	v_add3_u32 v6, v6, v8, v7
	v_sub_u32_e32 v7, v4, v6
	v_mov_b32_e32 v8, s23
	v_sub_co_u32_e32 v5, vcc, v3, v5
	v_subb_co_u32_e64 v7, s[0:1], v7, v8, vcc
	v_subrev_co_u32_e64 v8, s[0:1], s22, v5
	v_subbrev_co_u32_e64 v7, s[0:1], 0, v7, s[0:1]
	v_cmp_le_u32_e64 s[0:1], s23, v7
	v_subb_co_u32_e32 v4, vcc, v4, v6, vcc
	v_cndmask_b32_e64 v9, 0, -1, s[0:1]
	v_cmp_le_u32_e64 s[0:1], s22, v8
	v_cmp_le_u32_e32 vcc, s23, v4
	v_cndmask_b32_e64 v10, 0, -1, s[0:1]
	v_cmp_eq_u32_e64 s[0:1], s23, v7
	v_cndmask_b32_e64 v6, 0, -1, vcc
	v_cmp_le_u32_e32 vcc, s22, v5
	v_cndmask_b32_e64 v7, v9, v10, s[0:1]
	v_cndmask_b32_e64 v10, 0, -1, vcc
	v_cmp_eq_u32_e32 vcc, s23, v4
	v_subrev_co_u32_e64 v9, s[0:1], s22, v8
	v_cndmask_b32_e32 v4, v6, v10, vcc
	v_cmp_ne_u32_e32 vcc, 0, v7
	v_cndmask_b32_e32 v6, v8, v9, vcc
	v_cmp_ne_u32_e32 vcc, 0, v4
	v_cndmask_b32_e32 v5, v5, v6, vcc
	s_andn2_saveexec_b64 s[0:1], s[2:3]
	s_cbranch_execz .LBB14_19
.LBB14_21:
	v_cvt_f32_u32_e32 v4, s22
	s_sub_i32 s2, 0, s22
	v_rcp_iflag_f32_e32 v4, v4
	v_mul_f32_e32 v4, 0x4f7ffffe, v4
	v_cvt_u32_f32_e32 v4, v4
	v_mul_lo_u32 v5, s2, v4
	v_mul_hi_u32 v5, v4, v5
	v_add_u32_e32 v4, v4, v5
	v_mul_hi_u32 v4, v3, v4
	v_mul_lo_u32 v4, v4, s22
	v_sub_u32_e32 v4, v3, v4
	v_subrev_u32_e32 v5, s22, v4
	v_cmp_le_u32_e32 vcc, s22, v4
	v_cndmask_b32_e32 v4, v4, v5, vcc
	v_subrev_u32_e32 v5, s22, v4
	v_cmp_le_u32_e32 vcc, s22, v4
	v_cndmask_b32_e32 v5, v4, v5, vcc
	s_or_b64 exec, exec, s[0:1]
	s_cmp_eq_u64 s[10:11], 0
	s_cbranch_scc1 .LBB14_44
.LBB14_22:
	s_mul_i32 s0, s6, s25
	s_mul_hi_u32 s1, s6, s24
	s_add_i32 s0, s1, s0
	s_mul_i32 s7, s7, s24
	s_add_i32 s22, s0, s7
	v_or_b32_e32 v7, s22, v1
	v_mov_b32_e32 v6, 0
	v_cmp_ne_u64_e32 vcc, 0, v[6:7]
	s_mul_i32 s23, s6, s24
                                        ; implicit-def: $vgpr8_vgpr9
	s_and_saveexec_b64 s[0:1], vcc
	s_xor_b64 s[2:3], exec, s[0:1]
	s_cbranch_execz .LBB14_24
; %bb.23:
	s_ashr_i32 s6, s22, 31
	s_add_u32 s0, s23, s6
	s_mov_b32 s7, s6
	s_addc_u32 s1, s22, s6
	s_xor_b64 s[20:21], s[0:1], s[6:7]
	v_cvt_f32_u32_e32 v4, s20
	v_cvt_f32_u32_e32 v6, s21
	s_sub_u32 s7, 0, s20
	s_subb_u32 s25, 0, s21
	v_madmk_f32 v4, v6, 0x4f800000, v4
	v_rcp_f32_e32 v4, v4
	v_mul_f32_e32 v4, 0x5f7ffffc, v4
	v_mul_f32_e32 v6, 0x2f800000, v4
	v_trunc_f32_e32 v6, v6
	v_madmk_f32 v4, v6, 0xcf800000, v4
	v_cvt_u32_f32_e32 v6, v6
	v_cvt_u32_f32_e32 v4, v4
	v_readfirstlane_b32 s28, v6
	v_readfirstlane_b32 s0, v4
	s_mul_i32 s1, s7, s28
	s_mul_hi_u32 s30, s7, s0
	s_mul_i32 s29, s25, s0
	s_add_i32 s1, s30, s1
	s_add_i32 s1, s1, s29
	s_mul_i32 s31, s7, s0
	s_mul_i32 s30, s0, s1
	s_mul_hi_u32 s33, s0, s31
	s_mul_hi_u32 s29, s0, s1
	s_add_u32 s30, s33, s30
	s_addc_u32 s29, 0, s29
	s_mul_hi_u32 s34, s28, s31
	s_mul_i32 s31, s28, s31
	s_add_u32 s30, s30, s31
	s_mul_hi_u32 s33, s28, s1
	s_addc_u32 s29, s29, s34
	s_addc_u32 s30, s33, 0
	s_mul_i32 s1, s28, s1
	s_add_u32 s1, s29, s1
	s_addc_u32 s29, 0, s30
	s_add_u32 s30, s0, s1
	s_cselect_b64 s[0:1], -1, 0
	s_cmp_lg_u64 s[0:1], 0
	s_addc_u32 s28, s28, s29
	s_mul_i32 s0, s7, s28
	s_mul_hi_u32 s1, s7, s30
	s_add_i32 s0, s1, s0
	s_mul_i32 s25, s25, s30
	s_add_i32 s0, s0, s25
	s_mul_i32 s7, s7, s30
	s_mul_hi_u32 s25, s28, s7
	s_mul_i32 s29, s28, s7
	s_mul_i32 s33, s30, s0
	s_mul_hi_u32 s7, s30, s7
	s_mul_hi_u32 s31, s30, s0
	s_add_u32 s7, s7, s33
	s_addc_u32 s31, 0, s31
	s_add_u32 s7, s7, s29
	s_mul_hi_u32 s1, s28, s0
	s_addc_u32 s7, s31, s25
	s_addc_u32 s1, s1, 0
	s_mul_i32 s0, s28, s0
	s_add_u32 s0, s7, s0
	s_addc_u32 s7, 0, s1
	s_add_u32 s25, s30, s0
	s_cselect_b64 s[0:1], -1, 0
	v_ashrrev_i32_e32 v4, 31, v1
	s_cmp_lg_u64 s[0:1], 0
	v_add_co_u32_e32 v6, vcc, v0, v4
	s_addc_u32 s7, s28, s7
	v_xor_b32_e32 v10, v6, v4
	v_mad_u64_u32 v[6:7], s[0:1], v10, s7, 0
	v_mul_hi_u32 v9, v10, s25
	v_addc_co_u32_e32 v8, vcc, v1, v4, vcc
	v_xor_b32_e32 v11, v8, v4
	v_add_co_u32_e32 v12, vcc, v9, v6
	v_addc_co_u32_e32 v13, vcc, 0, v7, vcc
	v_mad_u64_u32 v[6:7], s[0:1], v11, s25, 0
	v_mad_u64_u32 v[8:9], s[0:1], v11, s7, 0
	v_add_co_u32_e32 v6, vcc, v12, v6
	v_addc_co_u32_e32 v6, vcc, v13, v7, vcc
	v_addc_co_u32_e32 v7, vcc, 0, v9, vcc
	v_add_co_u32_e32 v8, vcc, v6, v8
	v_addc_co_u32_e32 v9, vcc, 0, v7, vcc
	v_mul_lo_u32 v12, s21, v8
	v_mul_lo_u32 v13, s20, v9
	v_mad_u64_u32 v[6:7], s[0:1], s20, v8, 0
	v_xor_b32_e32 v4, s6, v4
	v_add3_u32 v7, v7, v13, v12
	v_sub_u32_e32 v12, v11, v7
	v_mov_b32_e32 v13, s21
	v_sub_co_u32_e32 v6, vcc, v10, v6
	v_subb_co_u32_e64 v10, s[0:1], v12, v13, vcc
	v_subrev_co_u32_e64 v12, s[0:1], s20, v6
	v_subbrev_co_u32_e64 v10, s[0:1], 0, v10, s[0:1]
	v_cmp_le_u32_e64 s[0:1], s21, v10
	v_cndmask_b32_e64 v13, 0, -1, s[0:1]
	v_cmp_le_u32_e64 s[0:1], s20, v12
	v_cndmask_b32_e64 v12, 0, -1, s[0:1]
	v_cmp_eq_u32_e64 s[0:1], s21, v10
	v_cndmask_b32_e64 v10, v13, v12, s[0:1]
	v_add_co_u32_e64 v12, s[0:1], 2, v8
	v_subb_co_u32_e32 v7, vcc, v11, v7, vcc
	v_addc_co_u32_e64 v13, s[0:1], 0, v9, s[0:1]
	v_cmp_le_u32_e32 vcc, s21, v7
	v_add_co_u32_e64 v14, s[0:1], 1, v8
	v_cndmask_b32_e64 v11, 0, -1, vcc
	v_cmp_le_u32_e32 vcc, s20, v6
	v_addc_co_u32_e64 v15, s[0:1], 0, v9, s[0:1]
	v_cndmask_b32_e64 v6, 0, -1, vcc
	v_cmp_eq_u32_e32 vcc, s21, v7
	v_cmp_ne_u32_e64 s[0:1], 0, v10
	v_cndmask_b32_e32 v6, v11, v6, vcc
	v_cmp_ne_u32_e32 vcc, 0, v6
	v_cndmask_b32_e64 v7, v14, v12, s[0:1]
	v_cndmask_b32_e64 v10, v15, v13, s[0:1]
	v_cndmask_b32_e32 v7, v8, v7, vcc
	v_cndmask_b32_e32 v6, v9, v10, vcc
	v_xor_b32_e32 v7, v7, v4
	v_xor_b32_e32 v6, v6, v4
	v_sub_co_u32_e32 v8, vcc, v7, v4
	v_subb_co_u32_e32 v9, vcc, v6, v4, vcc
.LBB14_24:
	s_andn2_saveexec_b64 s[0:1], s[2:3]
	s_cbranch_execz .LBB14_26
; %bb.25:
	v_cvt_f32_u32_e32 v4, s23
	s_sub_i32 s2, 0, s23
	v_mov_b32_e32 v9, 0
	v_rcp_iflag_f32_e32 v4, v4
	v_mul_f32_e32 v4, 0x4f7ffffe, v4
	v_cvt_u32_f32_e32 v4, v4
	v_mul_lo_u32 v6, s2, v4
	v_mul_hi_u32 v6, v4, v6
	v_add_u32_e32 v4, v4, v6
	v_mul_hi_u32 v4, v0, v4
	v_mul_lo_u32 v6, v4, s23
	v_add_u32_e32 v7, 1, v4
	v_sub_u32_e32 v6, v0, v6
	v_subrev_u32_e32 v8, s23, v6
	v_cmp_le_u32_e32 vcc, s23, v6
	v_cndmask_b32_e32 v6, v6, v8, vcc
	v_cndmask_b32_e32 v4, v4, v7, vcc
	v_add_u32_e32 v7, 1, v4
	v_cmp_le_u32_e32 vcc, s23, v6
	v_cndmask_b32_e32 v8, v4, v7, vcc
.LBB14_26:
	s_or_b64 exec, exec, s[0:1]
	v_or_b32_e32 v7, s13, v9
	v_mov_b32_e32 v6, 0
	v_cmp_ne_u64_e32 vcc, 0, v[6:7]
                                        ; implicit-def: $vgpr6_vgpr7
	s_and_saveexec_b64 s[0:1], vcc
	s_xor_b64 s[2:3], exec, s[0:1]
	s_cbranch_execz .LBB14_28
; %bb.27:
	v_cvt_f32_u32_e32 v4, s12
	v_cvt_f32_u32_e32 v6, s13
	s_sub_u32 s6, 0, s12
	s_subb_u32 s7, 0, s13
	v_madmk_f32 v4, v6, 0x4f800000, v4
	v_rcp_f32_e32 v4, v4
	v_mul_f32_e32 v4, 0x5f7ffffc, v4
	v_mul_f32_e32 v6, 0x2f800000, v4
	v_trunc_f32_e32 v6, v6
	v_madmk_f32 v4, v6, 0xcf800000, v4
	v_cvt_u32_f32_e32 v6, v6
	v_cvt_u32_f32_e32 v4, v4
	v_readfirstlane_b32 s20, v6
	v_readfirstlane_b32 s0, v4
	s_mul_i32 s1, s6, s20
	s_mul_hi_u32 s25, s6, s0
	s_mul_i32 s21, s7, s0
	s_add_i32 s1, s25, s1
	s_mul_i32 s28, s6, s0
	s_add_i32 s1, s1, s21
	s_mul_i32 s25, s0, s1
	s_mul_hi_u32 s29, s0, s28
	s_mul_hi_u32 s21, s0, s1
	s_add_u32 s25, s29, s25
	s_addc_u32 s21, 0, s21
	s_mul_hi_u32 s30, s20, s28
	s_mul_i32 s28, s20, s28
	s_add_u32 s25, s25, s28
	s_mul_hi_u32 s29, s20, s1
	s_addc_u32 s21, s21, s30
	s_addc_u32 s25, s29, 0
	s_mul_i32 s1, s20, s1
	s_add_u32 s1, s21, s1
	s_addc_u32 s21, 0, s25
	s_add_u32 s25, s0, s1
	s_cselect_b64 s[0:1], -1, 0
	s_cmp_lg_u64 s[0:1], 0
	s_addc_u32 s20, s20, s21
	s_mul_i32 s0, s6, s20
	s_mul_hi_u32 s1, s6, s25
	s_add_i32 s0, s1, s0
	s_mul_i32 s7, s7, s25
	s_add_i32 s0, s0, s7
	s_mul_i32 s6, s6, s25
	s_mul_hi_u32 s7, s20, s6
	s_mul_i32 s21, s20, s6
	s_mul_i32 s29, s25, s0
	s_mul_hi_u32 s6, s25, s6
	s_mul_hi_u32 s28, s25, s0
	s_add_u32 s6, s6, s29
	s_addc_u32 s28, 0, s28
	s_add_u32 s6, s6, s21
	s_mul_hi_u32 s1, s20, s0
	s_addc_u32 s6, s28, s7
	s_addc_u32 s1, s1, 0
	s_mul_i32 s0, s20, s0
	s_add_u32 s0, s6, s0
	s_addc_u32 s6, 0, s1
	s_add_u32 s7, s25, s0
	s_cselect_b64 s[0:1], -1, 0
	s_cmp_lg_u64 s[0:1], 0
	s_addc_u32 s6, s20, s6
	v_mad_u64_u32 v[6:7], s[0:1], v8, s6, 0
	v_mul_hi_u32 v4, v8, s7
	v_mad_u64_u32 v[10:11], s[0:1], v9, s6, 0
	v_add_co_u32_e32 v4, vcc, v4, v6
	v_addc_co_u32_e32 v12, vcc, 0, v7, vcc
	v_mad_u64_u32 v[6:7], s[0:1], v9, s7, 0
	v_add_co_u32_e32 v4, vcc, v4, v6
	v_addc_co_u32_e32 v4, vcc, v12, v7, vcc
	v_addc_co_u32_e32 v6, vcc, 0, v11, vcc
	v_add_co_u32_e32 v4, vcc, v4, v10
	v_addc_co_u32_e32 v6, vcc, 0, v6, vcc
	v_mul_lo_u32 v10, s13, v4
	v_mul_lo_u32 v11, s12, v6
	v_mad_u64_u32 v[6:7], s[0:1], s12, v4, 0
	v_add3_u32 v4, v7, v11, v10
	v_sub_u32_e32 v7, v9, v4
	v_mov_b32_e32 v10, s13
	v_sub_co_u32_e32 v6, vcc, v8, v6
	v_subb_co_u32_e64 v7, s[0:1], v7, v10, vcc
	v_subrev_co_u32_e64 v8, s[0:1], s12, v6
	v_subbrev_co_u32_e64 v7, s[0:1], 0, v7, s[0:1]
	v_cmp_le_u32_e64 s[0:1], s13, v7
	v_subb_co_u32_e32 v4, vcc, v9, v4, vcc
	v_cndmask_b32_e64 v10, 0, -1, s[0:1]
	v_cmp_le_u32_e64 s[0:1], s12, v8
	v_cmp_le_u32_e32 vcc, s13, v4
	v_cndmask_b32_e64 v11, 0, -1, s[0:1]
	v_cmp_eq_u32_e64 s[0:1], s13, v7
	v_cndmask_b32_e64 v9, 0, -1, vcc
	v_cmp_le_u32_e32 vcc, s12, v6
	v_cndmask_b32_e64 v7, v10, v11, s[0:1]
	v_cndmask_b32_e64 v11, 0, -1, vcc
	v_cmp_eq_u32_e32 vcc, s13, v4
	v_subrev_co_u32_e64 v10, s[0:1], s12, v8
	v_cndmask_b32_e32 v4, v9, v11, vcc
	v_cmp_ne_u32_e32 vcc, 0, v7
	v_cndmask_b32_e32 v7, v8, v10, vcc
	v_cmp_ne_u32_e32 vcc, 0, v4
	v_cndmask_b32_e32 v6, v6, v7, vcc
                                        ; implicit-def: $vgpr8_vgpr9
.LBB14_28:
	s_andn2_saveexec_b64 s[0:1], s[2:3]
	s_cbranch_execz .LBB14_30
; %bb.29:
	v_cvt_f32_u32_e32 v4, s12
	s_sub_i32 s2, 0, s12
	v_rcp_iflag_f32_e32 v4, v4
	v_mul_f32_e32 v4, 0x4f7ffffe, v4
	v_cvt_u32_f32_e32 v4, v4
	v_mul_lo_u32 v6, s2, v4
	v_mul_hi_u32 v6, v4, v6
	v_add_u32_e32 v4, v4, v6
	v_mul_hi_u32 v4, v8, v4
	v_mul_lo_u32 v4, v4, s12
	v_sub_u32_e32 v4, v8, v4
	v_subrev_u32_e32 v6, s12, v4
	v_cmp_le_u32_e32 vcc, s12, v4
	v_cndmask_b32_e32 v4, v4, v6, vcc
	v_subrev_u32_e32 v6, s12, v4
	v_cmp_le_u32_e32 vcc, s12, v4
	v_cndmask_b32_e32 v6, v4, v6, vcc
.LBB14_30:
	s_or_b64 exec, exec, s[0:1]
	s_mul_i32 s0, s18, s17
	s_mul_hi_u32 s1, s18, s16
	s_add_i32 s0, s1, s0
	s_mul_i32 s1, s19, s16
	s_add_i32 s30, s0, s1
	s_load_dwordx4 s[0:3], s[4:5], 0x50
	v_cvt_f32_i32_e32 v4, v5
	v_add_u32_e32 v5, 1, v5
	v_cvt_f32_i32_e32 v5, v5
	v_mul_lo_u32 v3, v3, s24
	s_waitcnt lgkmcnt(0)
	v_mul_f32_e32 v4, s1, v4
	v_ceil_f32_e32 v4, v4
	v_mul_f32_e32 v5, s1, v5
	v_ceil_f32_e32 v5, v5
	v_sub_u32_e32 v3, v0, v3
	v_cvt_i32_f32_e32 v5, v5
	v_cvt_f32_i32_e32 v7, v3
	v_add_u32_e32 v3, 1, v3
	v_cvt_f32_i32_e32 v3, v3
	v_min_i32_e32 v13, s16, v5
	v_mul_f32_e32 v5, s2, v7
	v_cvt_f32_i32_e32 v7, v2
	v_add_u32_e32 v2, 1, v2
	v_cvt_f32_i32_e32 v2, v2
	v_mul_f32_e32 v3, s2, v3
	v_ceil_f32_e32 v3, v3
	v_mul_f32_e32 v7, s0, v7
	v_mul_f32_e32 v2, s0, v2
	v_ceil_f32_e32 v2, v2
	v_ceil_f32_e32 v5, v5
	v_cvt_i32_f32_e32 v3, v3
	v_ceil_f32_e32 v7, v7
	v_cvt_i32_f32_e32 v2, v2
	v_cvt_i32_f32_e32 v4, v4
	;; [unrolled: 1-line block ×4, first 2 shown]
	s_mul_i32 s31, s18, s16
	s_mul_i32 s0, s31, s15
	s_mul_hi_u32 s1, s31, s14
	s_mul_i32 s6, s23, s13
	s_mul_hi_u32 s7, s23, s12
	v_min_i32_e32 v15, s18, v3
	v_min_i32_e32 v17, s14, v2
	s_add_i32 s0, s1, s0
	s_mul_i32 s1, s30, s14
	s_add_i32 s6, s7, s6
	s_mul_i32 s7, s22, s12
	v_min_i32_e32 v12, s16, v4
	v_min_i32_e32 v14, s18, v5
	;; [unrolled: 1-line block ×3, first 2 shown]
	s_add_i32 s33, s0, s1
	s_mul_i32 s34, s31, s14
	v_cmp_gt_i32_e64 s[0:1], v17, v7
	v_cmp_gt_i32_e64 s[2:3], v13, v4
	;; [unrolled: 1-line block ×3, first 2 shown]
	v_ashrrev_i32_e32 v7, 31, v6
	s_add_i32 s35, s6, s7
	s_mul_i32 s36, s23, s12
	s_mov_b64 s[14:15], 0
	s_branch .LBB14_33
.LBB14_31:                              ;   in Loop: Header=BB14_33 Depth=1
	s_or_b64 exec, exec, s[16:17]
.LBB14_32:                              ;   in Loop: Header=BB14_33 Depth=1
	s_or_b64 exec, exec, s[6:7]
	v_mov_b32_e32 v4, s27
	v_add_co_u32_e32 v3, vcc, s26, v0
	v_addc_co_u32_e32 v4, vcc, v4, v1, vcc
	s_add_u32 s14, s14, 1
	global_store_byte v[3:4], v2, off
	s_addc_u32 s15, s15, 0
	v_mov_b32_e32 v2, s14
	v_mov_b32_e32 v3, s15
	v_cmp_le_u64_e32 vcc, s[10:11], v[2:3]
	v_mov_b32_e32 v4, s35
	v_add_co_u32_e64 v0, s[6:7], s36, v0
	v_addc_co_u32_e64 v1, s[6:7], v1, v4, s[6:7]
	s_cbranch_vccnz .LBB14_44
.LBB14_33:                              ; =>This Loop Header: Depth=1
                                        ;     Child Loop BB14_37 Depth 2
                                        ;       Child Loop BB14_40 Depth 3
                                        ;         Child Loop BB14_42 Depth 4
	v_mov_b32_e32 v2, 0
	s_and_saveexec_b64 s[6:7], s[0:1]
	s_cbranch_execz .LBB14_32
; %bb.34:                               ;   in Loop: Header=BB14_33 Depth=1
	v_mov_b32_e32 v2, s12
	v_mad_u64_u32 v[2:3], s[16:17], s14, v2, v[6:7]
	s_mul_i32 s16, s15, s12
	s_mul_i32 s17, s14, s13
	s_add_i32 s17, s17, s16
	v_add_u32_e32 v3, s17, v3
	v_mul_lo_u32 v8, s34, v3
	v_mov_b32_e32 v3, s8
	v_mov_b32_e32 v4, s9
	v_mul_lo_u32 v9, s33, v2
	v_mad_u64_u32 v[4:5], s[16:17], s34, v2, v[3:4]
	v_mov_b32_e32 v2, 0
	s_mov_b64 s[16:17], 0
	v_add3_u32 v5, v9, v5, v8
	v_mov_b32_e32 v3, 0
	v_mov_b32_e32 v18, v16
	s_branch .LBB14_37
.LBB14_35:                              ;   in Loop: Header=BB14_37 Depth=2
	s_or_b64 exec, exec, s[22:23]
.LBB14_36:                              ;   in Loop: Header=BB14_37 Depth=2
	s_or_b64 exec, exec, s[20:21]
	v_add_u32_e32 v18, 1, v18
	v_cmp_ge_i32_e32 vcc, v18, v17
	s_or_b64 s[16:17], vcc, s[16:17]
	s_andn2_b64 exec, exec, s[16:17]
	s_cbranch_execz .LBB14_31
.LBB14_37:                              ;   Parent Loop BB14_33 Depth=1
                                        ; =>  This Loop Header: Depth=2
                                        ;       Child Loop BB14_40 Depth 3
                                        ;         Child Loop BB14_42 Depth 4
	s_and_saveexec_b64 s[20:21], s[2:3]
	s_cbranch_execz .LBB14_36
; %bb.38:                               ;   in Loop: Header=BB14_37 Depth=2
	v_ashrrev_i32_e32 v10, 31, v18
	v_mad_u64_u32 v[8:9], s[22:23], s31, v18, v[4:5]
	v_mul_lo_u32 v11, s30, v18
	v_mul_lo_u32 v10, s31, v10
	s_mov_b64 s[22:23], 0
	v_mov_b32_e32 v19, v12
	v_add3_u32 v9, v11, v9, v10
	s_branch .LBB14_40
.LBB14_39:                              ;   in Loop: Header=BB14_40 Depth=3
	s_or_b64 exec, exec, s[24:25]
	v_add_u32_e32 v19, 1, v19
	v_cmp_ge_i32_e32 vcc, v19, v13
	s_or_b64 s[22:23], vcc, s[22:23]
	s_andn2_b64 exec, exec, s[22:23]
	s_cbranch_execz .LBB14_35
.LBB14_40:                              ;   Parent Loop BB14_33 Depth=1
                                        ;     Parent Loop BB14_37 Depth=2
                                        ; =>    This Loop Header: Depth=3
                                        ;         Child Loop BB14_42 Depth 4
	s_and_saveexec_b64 s[24:25], s[4:5]
	s_cbranch_execz .LBB14_39
; %bb.41:                               ;   in Loop: Header=BB14_40 Depth=3
	v_ashrrev_i32_e32 v20, 31, v19
	v_mad_u64_u32 v[10:11], s[28:29], s18, v19, v[8:9]
	v_mul_lo_u32 v21, s19, v19
	v_mul_lo_u32 v20, s18, v20
	s_mov_b64 s[28:29], 0
	v_add3_u32 v11, v21, v11, v20
	v_mov_b32_e32 v20, v14
.LBB14_42:                              ;   Parent Loop BB14_33 Depth=1
                                        ;     Parent Loop BB14_37 Depth=2
                                        ;       Parent Loop BB14_40 Depth=3
                                        ; =>      This Inner Loop Header: Depth=4
	v_ashrrev_i32_e32 v22, 31, v20
	v_add_co_u32_e32 v21, vcc, v10, v20
	v_addc_co_u32_e32 v22, vcc, v11, v22, vcc
	global_load_ubyte v21, v[21:22], off
	v_add_u32_e32 v20, 1, v20
	v_cmp_ge_i32_e32 vcc, v20, v15
	s_or_b64 s[28:29], vcc, s[28:29]
	s_waitcnt vmcnt(0)
	v_and_b32_e32 v21, 0xffff, v21
	v_add_co_u32_e32 v2, vcc, v2, v21
	v_addc_co_u32_e32 v3, vcc, 0, v3, vcc
	s_andn2_b64 exec, exec, s[28:29]
	s_cbranch_execnz .LBB14_42
; %bb.43:                               ;   in Loop: Header=BB14_40 Depth=3
	s_or_b64 exec, exec, s[28:29]
	s_branch .LBB14_39
.LBB14_44:
	s_endpgm
	.section	.rodata,"a",@progbits
	.p2align	6, 0x0
	.amdhsa_kernel _ZN2at6native12_GLOBAL__N_137upsample_nearest3d_backward_out_frameIhlXadL_ZNS0_40nearest_neighbor_bw_compute_source_indexEfiiEEEEvPKT_mmmmmmmmPS3_fff
		.amdhsa_group_segment_fixed_size 0
		.amdhsa_private_segment_fixed_size 0
		.amdhsa_kernarg_size 352
		.amdhsa_user_sgpr_count 6
		.amdhsa_user_sgpr_private_segment_buffer 1
		.amdhsa_user_sgpr_dispatch_ptr 0
		.amdhsa_user_sgpr_queue_ptr 0
		.amdhsa_user_sgpr_kernarg_segment_ptr 1
		.amdhsa_user_sgpr_dispatch_id 0
		.amdhsa_user_sgpr_flat_scratch_init 0
		.amdhsa_user_sgpr_private_segment_size 0
		.amdhsa_uses_dynamic_stack 0
		.amdhsa_system_sgpr_private_segment_wavefront_offset 0
		.amdhsa_system_sgpr_workgroup_id_x 1
		.amdhsa_system_sgpr_workgroup_id_y 0
		.amdhsa_system_sgpr_workgroup_id_z 0
		.amdhsa_system_sgpr_workgroup_info 0
		.amdhsa_system_vgpr_workitem_id 0
		.amdhsa_next_free_vgpr 23
		.amdhsa_next_free_sgpr 37
		.amdhsa_reserve_vcc 1
		.amdhsa_reserve_flat_scratch 0
		.amdhsa_float_round_mode_32 0
		.amdhsa_float_round_mode_16_64 0
		.amdhsa_float_denorm_mode_32 3
		.amdhsa_float_denorm_mode_16_64 3
		.amdhsa_dx10_clamp 1
		.amdhsa_ieee_mode 1
		.amdhsa_fp16_overflow 0
		.amdhsa_exception_fp_ieee_invalid_op 0
		.amdhsa_exception_fp_denorm_src 0
		.amdhsa_exception_fp_ieee_div_zero 0
		.amdhsa_exception_fp_ieee_overflow 0
		.amdhsa_exception_fp_ieee_underflow 0
		.amdhsa_exception_fp_ieee_inexact 0
		.amdhsa_exception_int_div_zero 0
	.end_amdhsa_kernel
	.section	.text._ZN2at6native12_GLOBAL__N_137upsample_nearest3d_backward_out_frameIhlXadL_ZNS0_40nearest_neighbor_bw_compute_source_indexEfiiEEEEvPKT_mmmmmmmmPS3_fff,"axG",@progbits,_ZN2at6native12_GLOBAL__N_137upsample_nearest3d_backward_out_frameIhlXadL_ZNS0_40nearest_neighbor_bw_compute_source_indexEfiiEEEEvPKT_mmmmmmmmPS3_fff,comdat
.Lfunc_end14:
	.size	_ZN2at6native12_GLOBAL__N_137upsample_nearest3d_backward_out_frameIhlXadL_ZNS0_40nearest_neighbor_bw_compute_source_indexEfiiEEEEvPKT_mmmmmmmmPS3_fff, .Lfunc_end14-_ZN2at6native12_GLOBAL__N_137upsample_nearest3d_backward_out_frameIhlXadL_ZNS0_40nearest_neighbor_bw_compute_source_indexEfiiEEEEvPKT_mmmmmmmmPS3_fff
                                        ; -- End function
	.set _ZN2at6native12_GLOBAL__N_137upsample_nearest3d_backward_out_frameIhlXadL_ZNS0_40nearest_neighbor_bw_compute_source_indexEfiiEEEEvPKT_mmmmmmmmPS3_fff.num_vgpr, 23
	.set _ZN2at6native12_GLOBAL__N_137upsample_nearest3d_backward_out_frameIhlXadL_ZNS0_40nearest_neighbor_bw_compute_source_indexEfiiEEEEvPKT_mmmmmmmmPS3_fff.num_agpr, 0
	.set _ZN2at6native12_GLOBAL__N_137upsample_nearest3d_backward_out_frameIhlXadL_ZNS0_40nearest_neighbor_bw_compute_source_indexEfiiEEEEvPKT_mmmmmmmmPS3_fff.numbered_sgpr, 37
	.set _ZN2at6native12_GLOBAL__N_137upsample_nearest3d_backward_out_frameIhlXadL_ZNS0_40nearest_neighbor_bw_compute_source_indexEfiiEEEEvPKT_mmmmmmmmPS3_fff.num_named_barrier, 0
	.set _ZN2at6native12_GLOBAL__N_137upsample_nearest3d_backward_out_frameIhlXadL_ZNS0_40nearest_neighbor_bw_compute_source_indexEfiiEEEEvPKT_mmmmmmmmPS3_fff.private_seg_size, 0
	.set _ZN2at6native12_GLOBAL__N_137upsample_nearest3d_backward_out_frameIhlXadL_ZNS0_40nearest_neighbor_bw_compute_source_indexEfiiEEEEvPKT_mmmmmmmmPS3_fff.uses_vcc, 1
	.set _ZN2at6native12_GLOBAL__N_137upsample_nearest3d_backward_out_frameIhlXadL_ZNS0_40nearest_neighbor_bw_compute_source_indexEfiiEEEEvPKT_mmmmmmmmPS3_fff.uses_flat_scratch, 0
	.set _ZN2at6native12_GLOBAL__N_137upsample_nearest3d_backward_out_frameIhlXadL_ZNS0_40nearest_neighbor_bw_compute_source_indexEfiiEEEEvPKT_mmmmmmmmPS3_fff.has_dyn_sized_stack, 0
	.set _ZN2at6native12_GLOBAL__N_137upsample_nearest3d_backward_out_frameIhlXadL_ZNS0_40nearest_neighbor_bw_compute_source_indexEfiiEEEEvPKT_mmmmmmmmPS3_fff.has_recursion, 0
	.set _ZN2at6native12_GLOBAL__N_137upsample_nearest3d_backward_out_frameIhlXadL_ZNS0_40nearest_neighbor_bw_compute_source_indexEfiiEEEEvPKT_mmmmmmmmPS3_fff.has_indirect_call, 0
	.section	.AMDGPU.csdata,"",@progbits
; Kernel info:
; codeLenInByte = 5568
; TotalNumSgprs: 41
; NumVgprs: 23
; ScratchSize: 0
; MemoryBound: 0
; FloatMode: 240
; IeeeMode: 1
; LDSByteSize: 0 bytes/workgroup (compile time only)
; SGPRBlocks: 5
; VGPRBlocks: 5
; NumSGPRsForWavesPerEU: 41
; NumVGPRsForWavesPerEU: 23
; Occupancy: 10
; WaveLimiterHint : 0
; COMPUTE_PGM_RSRC2:SCRATCH_EN: 0
; COMPUTE_PGM_RSRC2:USER_SGPR: 6
; COMPUTE_PGM_RSRC2:TRAP_HANDLER: 0
; COMPUTE_PGM_RSRC2:TGID_X_EN: 1
; COMPUTE_PGM_RSRC2:TGID_Y_EN: 0
; COMPUTE_PGM_RSRC2:TGID_Z_EN: 0
; COMPUTE_PGM_RSRC2:TIDIG_COMP_CNT: 0
	.section	.text._ZN2at6native12_GLOBAL__N_137upsample_nearest3d_backward_out_frameIddXadL_ZNS0_46nearest_neighbor_exact_bw_compute_source_indexEfiiEEEEvPKT_mmmmmmmmPS3_fff,"axG",@progbits,_ZN2at6native12_GLOBAL__N_137upsample_nearest3d_backward_out_frameIddXadL_ZNS0_46nearest_neighbor_exact_bw_compute_source_indexEfiiEEEEvPKT_mmmmmmmmPS3_fff,comdat
	.globl	_ZN2at6native12_GLOBAL__N_137upsample_nearest3d_backward_out_frameIddXadL_ZNS0_46nearest_neighbor_exact_bw_compute_source_indexEfiiEEEEvPKT_mmmmmmmmPS3_fff ; -- Begin function _ZN2at6native12_GLOBAL__N_137upsample_nearest3d_backward_out_frameIddXadL_ZNS0_46nearest_neighbor_exact_bw_compute_source_indexEfiiEEEEvPKT_mmmmmmmmPS3_fff
	.p2align	8
	.type	_ZN2at6native12_GLOBAL__N_137upsample_nearest3d_backward_out_frameIddXadL_ZNS0_46nearest_neighbor_exact_bw_compute_source_indexEfiiEEEEvPKT_mmmmmmmmPS3_fff,@function
_ZN2at6native12_GLOBAL__N_137upsample_nearest3d_backward_out_frameIddXadL_ZNS0_46nearest_neighbor_exact_bw_compute_source_indexEfiiEEEEvPKT_mmmmmmmmPS3_fff: ; @_ZN2at6native12_GLOBAL__N_137upsample_nearest3d_backward_out_frameIddXadL_ZNS0_46nearest_neighbor_exact_bw_compute_source_indexEfiiEEEEvPKT_mmmmmmmmPS3_fff
; %bb.0:
	s_load_dword s0, s[4:5], 0x6c
	s_load_dwordx4 s[24:27], s[4:5], 0x40
	s_load_dwordx16 s[8:23], s[4:5], 0x0
	v_mov_b32_e32 v2, 0
	v_mov_b32_e32 v1, v2
	s_waitcnt lgkmcnt(0)
	s_and_b32 s0, s0, 0xffff
	v_mov_b32_e32 v3, s6
	v_mad_u64_u32 v[0:1], s[0:1], s0, v3, v[0:1]
	s_mul_i32 s0, s22, s21
	s_mul_hi_u32 s1, s22, s20
	s_add_i32 s7, s1, s0
	s_mul_i32 s0, s23, s20
	s_mul_i32 s6, s22, s20
	s_add_i32 s7, s7, s0
	s_mul_i32 s0, s6, s13
	s_mul_hi_u32 s1, s6, s12
	s_add_i32 s0, s1, s0
	s_mul_i32 s1, s7, s12
	s_mul_i32 s2, s6, s12
	s_add_i32 s0, s0, s1
	s_mul_i32 s1, s2, s25
	s_mul_hi_u32 s3, s2, s24
	s_mul_i32 s0, s0, s24
	s_add_i32 s1, s3, s1
	s_add_i32 s1, s1, s0
	s_mul_i32 s0, s2, s24
	v_cmp_gt_u64_e32 vcc, s[0:1], v[0:1]
	s_and_saveexec_b64 s[0:1], vcc
	s_cbranch_execz .LBB15_44
; %bb.1:
	v_or_b32_e32 v3, s23, v1
	v_cmp_ne_u64_e32 vcc, 0, v[2:3]
                                        ; implicit-def: $vgpr2_vgpr3
	s_and_saveexec_b64 s[0:1], vcc
	s_xor_b64 s[2:3], exec, s[0:1]
	s_cbranch_execz .LBB15_3
; %bb.2:
	v_cvt_f32_u32_e32 v2, s22
	v_cvt_f32_u32_e32 v3, s23
	s_sub_u32 s28, 0, s22
	s_subb_u32 s29, 0, s23
	v_madmk_f32 v2, v3, 0x4f800000, v2
	v_rcp_f32_e32 v2, v2
	v_mul_f32_e32 v2, 0x5f7ffffc, v2
	v_mul_f32_e32 v3, 0x2f800000, v2
	v_trunc_f32_e32 v3, v3
	v_madmk_f32 v2, v3, 0xcf800000, v2
	v_cvt_u32_f32_e32 v3, v3
	v_cvt_u32_f32_e32 v2, v2
	v_readfirstlane_b32 s30, v3
	v_readfirstlane_b32 s0, v2
	s_mul_i32 s1, s28, s30
	s_mul_hi_u32 s33, s28, s0
	s_mul_i32 s31, s29, s0
	s_add_i32 s1, s33, s1
	s_mul_i32 s34, s28, s0
	s_add_i32 s1, s1, s31
	s_mul_i32 s33, s0, s1
	s_mul_hi_u32 s35, s0, s34
	s_mul_hi_u32 s31, s0, s1
	s_add_u32 s33, s35, s33
	s_addc_u32 s31, 0, s31
	s_mul_hi_u32 s36, s30, s34
	s_mul_i32 s34, s30, s34
	s_add_u32 s33, s33, s34
	s_mul_hi_u32 s35, s30, s1
	s_addc_u32 s31, s31, s36
	s_addc_u32 s33, s35, 0
	s_mul_i32 s1, s30, s1
	s_add_u32 s1, s31, s1
	s_addc_u32 s31, 0, s33
	s_add_u32 s33, s0, s1
	s_cselect_b64 s[0:1], -1, 0
	s_cmp_lg_u64 s[0:1], 0
	s_addc_u32 s30, s30, s31
	s_mul_i32 s0, s28, s30
	s_mul_hi_u32 s1, s28, s33
	s_add_i32 s0, s1, s0
	s_mul_i32 s29, s29, s33
	s_add_i32 s0, s0, s29
	s_mul_i32 s28, s28, s33
	s_mul_hi_u32 s29, s30, s28
	s_mul_i32 s31, s30, s28
	s_mul_i32 s35, s33, s0
	s_mul_hi_u32 s28, s33, s28
	s_mul_hi_u32 s34, s33, s0
	s_add_u32 s28, s28, s35
	s_addc_u32 s34, 0, s34
	s_add_u32 s28, s28, s31
	s_mul_hi_u32 s1, s30, s0
	s_addc_u32 s28, s34, s29
	s_addc_u32 s1, s1, 0
	s_mul_i32 s0, s30, s0
	s_add_u32 s0, s28, s0
	s_addc_u32 s28, 0, s1
	s_add_u32 s29, s33, s0
	s_cselect_b64 s[0:1], -1, 0
	s_cmp_lg_u64 s[0:1], 0
	s_addc_u32 s28, s30, s28
	v_mad_u64_u32 v[2:3], s[0:1], v0, s28, 0
	v_mul_hi_u32 v4, v0, s29
	v_add_co_u32_e32 v6, vcc, v4, v2
	v_addc_co_u32_e32 v7, vcc, 0, v3, vcc
	v_mad_u64_u32 v[2:3], s[0:1], v1, s29, 0
	v_mad_u64_u32 v[4:5], s[0:1], v1, s28, 0
	v_add_co_u32_e32 v2, vcc, v6, v2
	v_addc_co_u32_e32 v2, vcc, v7, v3, vcc
	v_addc_co_u32_e32 v3, vcc, 0, v5, vcc
	v_add_co_u32_e32 v4, vcc, v2, v4
	v_addc_co_u32_e32 v5, vcc, 0, v3, vcc
	v_mul_lo_u32 v6, s23, v4
	v_mul_lo_u32 v7, s22, v5
	v_mad_u64_u32 v[2:3], s[0:1], s22, v4, 0
	v_add3_u32 v3, v3, v7, v6
	v_sub_u32_e32 v6, v1, v3
	v_mov_b32_e32 v7, s23
	v_sub_co_u32_e32 v2, vcc, v0, v2
	v_subb_co_u32_e64 v6, s[0:1], v6, v7, vcc
	v_subrev_co_u32_e64 v7, s[0:1], s22, v2
	v_subbrev_co_u32_e64 v6, s[0:1], 0, v6, s[0:1]
	v_cmp_le_u32_e64 s[0:1], s23, v6
	v_cndmask_b32_e64 v8, 0, -1, s[0:1]
	v_cmp_le_u32_e64 s[0:1], s22, v7
	v_cndmask_b32_e64 v7, 0, -1, s[0:1]
	v_cmp_eq_u32_e64 s[0:1], s23, v6
	v_cndmask_b32_e64 v6, v8, v7, s[0:1]
	v_add_co_u32_e64 v7, s[0:1], 2, v4
	v_addc_co_u32_e64 v8, s[0:1], 0, v5, s[0:1]
	v_add_co_u32_e64 v9, s[0:1], 1, v4
	v_addc_co_u32_e64 v10, s[0:1], 0, v5, s[0:1]
	v_subb_co_u32_e32 v3, vcc, v1, v3, vcc
	v_cmp_ne_u32_e64 s[0:1], 0, v6
	v_cmp_le_u32_e32 vcc, s23, v3
	v_cndmask_b32_e64 v6, v10, v8, s[0:1]
	v_cndmask_b32_e64 v8, 0, -1, vcc
	v_cmp_le_u32_e32 vcc, s22, v2
	v_cndmask_b32_e64 v2, 0, -1, vcc
	v_cmp_eq_u32_e32 vcc, s23, v3
	v_cndmask_b32_e32 v2, v8, v2, vcc
	v_cmp_ne_u32_e32 vcc, 0, v2
	v_cndmask_b32_e64 v2, v9, v7, s[0:1]
	v_cndmask_b32_e32 v3, v5, v6, vcc
	v_cndmask_b32_e32 v2, v4, v2, vcc
.LBB15_3:
	s_andn2_saveexec_b64 s[0:1], s[2:3]
	s_cbranch_execz .LBB15_5
; %bb.4:
	v_cvt_f32_u32_e32 v2, s22
	s_sub_i32 s2, 0, s22
	v_rcp_iflag_f32_e32 v2, v2
	v_mul_f32_e32 v2, 0x4f7ffffe, v2
	v_cvt_u32_f32_e32 v2, v2
	v_mul_lo_u32 v3, s2, v2
	v_mul_hi_u32 v3, v2, v3
	v_add_u32_e32 v2, v2, v3
	v_mul_hi_u32 v2, v0, v2
	v_mul_lo_u32 v3, v2, s22
	v_add_u32_e32 v4, 1, v2
	v_sub_u32_e32 v3, v0, v3
	v_subrev_u32_e32 v5, s22, v3
	v_cmp_le_u32_e32 vcc, s22, v3
	v_cndmask_b32_e32 v3, v3, v5, vcc
	v_cndmask_b32_e32 v2, v2, v4, vcc
	v_add_u32_e32 v4, 1, v2
	v_cmp_le_u32_e32 vcc, s22, v3
	v_cndmask_b32_e32 v2, v2, v4, vcc
	v_mov_b32_e32 v3, 0
.LBB15_5:
	s_or_b64 exec, exec, s[0:1]
	v_or_b32_e32 v5, s25, v3
	v_mov_b32_e32 v4, 0
	v_cmp_ne_u64_e32 vcc, 0, v[4:5]
                                        ; implicit-def: $vgpr4_vgpr5
	s_and_saveexec_b64 s[0:1], vcc
	s_xor_b64 s[2:3], exec, s[0:1]
	s_cbranch_execz .LBB15_7
; %bb.6:
	v_cvt_f32_u32_e32 v4, s24
	v_cvt_f32_u32_e32 v5, s25
	s_sub_u32 s28, 0, s24
	s_subb_u32 s29, 0, s25
	v_madmk_f32 v4, v5, 0x4f800000, v4
	v_rcp_f32_e32 v4, v4
	v_mul_f32_e32 v4, 0x5f7ffffc, v4
	v_mul_f32_e32 v5, 0x2f800000, v4
	v_trunc_f32_e32 v5, v5
	v_madmk_f32 v4, v5, 0xcf800000, v4
	v_cvt_u32_f32_e32 v5, v5
	v_cvt_u32_f32_e32 v4, v4
	v_readfirstlane_b32 s30, v5
	v_readfirstlane_b32 s0, v4
	s_mul_i32 s1, s28, s30
	s_mul_hi_u32 s33, s28, s0
	s_mul_i32 s31, s29, s0
	s_add_i32 s1, s33, s1
	s_mul_i32 s34, s28, s0
	s_add_i32 s1, s1, s31
	s_mul_i32 s33, s0, s1
	s_mul_hi_u32 s35, s0, s34
	s_mul_hi_u32 s31, s0, s1
	s_add_u32 s33, s35, s33
	s_addc_u32 s31, 0, s31
	s_mul_hi_u32 s36, s30, s34
	s_mul_i32 s34, s30, s34
	s_add_u32 s33, s33, s34
	s_mul_hi_u32 s35, s30, s1
	s_addc_u32 s31, s31, s36
	s_addc_u32 s33, s35, 0
	s_mul_i32 s1, s30, s1
	s_add_u32 s1, s31, s1
	s_addc_u32 s31, 0, s33
	s_add_u32 s33, s0, s1
	s_cselect_b64 s[0:1], -1, 0
	s_cmp_lg_u64 s[0:1], 0
	s_addc_u32 s30, s30, s31
	s_mul_i32 s0, s28, s30
	s_mul_hi_u32 s1, s28, s33
	s_add_i32 s0, s1, s0
	s_mul_i32 s29, s29, s33
	s_add_i32 s0, s0, s29
	s_mul_i32 s28, s28, s33
	s_mul_hi_u32 s29, s30, s28
	s_mul_i32 s31, s30, s28
	s_mul_i32 s35, s33, s0
	s_mul_hi_u32 s28, s33, s28
	s_mul_hi_u32 s34, s33, s0
	s_add_u32 s28, s28, s35
	s_addc_u32 s34, 0, s34
	s_add_u32 s28, s28, s31
	s_mul_hi_u32 s1, s30, s0
	s_addc_u32 s28, s34, s29
	s_addc_u32 s1, s1, 0
	s_mul_i32 s0, s30, s0
	s_add_u32 s0, s28, s0
	s_addc_u32 s28, 0, s1
	s_add_u32 s29, s33, s0
	s_cselect_b64 s[0:1], -1, 0
	s_cmp_lg_u64 s[0:1], 0
	s_addc_u32 s28, s30, s28
	v_mad_u64_u32 v[4:5], s[0:1], v2, s28, 0
	v_mul_hi_u32 v6, v2, s29
	v_add_co_u32_e32 v8, vcc, v6, v4
	v_addc_co_u32_e32 v9, vcc, 0, v5, vcc
	v_mad_u64_u32 v[4:5], s[0:1], v3, s29, 0
	v_mad_u64_u32 v[6:7], s[0:1], v3, s28, 0
	v_add_co_u32_e32 v4, vcc, v8, v4
	v_addc_co_u32_e32 v4, vcc, v9, v5, vcc
	v_addc_co_u32_e32 v5, vcc, 0, v7, vcc
	v_add_co_u32_e32 v6, vcc, v4, v6
	v_addc_co_u32_e32 v7, vcc, 0, v5, vcc
	v_mul_lo_u32 v8, s25, v6
	v_mul_lo_u32 v9, s24, v7
	v_mad_u64_u32 v[4:5], s[0:1], s24, v6, 0
	v_add3_u32 v5, v5, v9, v8
	v_sub_u32_e32 v8, v3, v5
	v_mov_b32_e32 v9, s25
	v_sub_co_u32_e32 v2, vcc, v2, v4
	v_subb_co_u32_e64 v4, s[0:1], v8, v9, vcc
	v_subrev_co_u32_e64 v8, s[0:1], s24, v2
	v_subbrev_co_u32_e64 v4, s[0:1], 0, v4, s[0:1]
	v_cmp_le_u32_e64 s[0:1], s25, v4
	v_cndmask_b32_e64 v9, 0, -1, s[0:1]
	v_cmp_le_u32_e64 s[0:1], s24, v8
	v_cndmask_b32_e64 v8, 0, -1, s[0:1]
	v_cmp_eq_u32_e64 s[0:1], s25, v4
	v_cndmask_b32_e64 v4, v9, v8, s[0:1]
	v_add_co_u32_e64 v8, s[0:1], 2, v6
	v_subb_co_u32_e32 v3, vcc, v3, v5, vcc
	v_addc_co_u32_e64 v9, s[0:1], 0, v7, s[0:1]
	v_cmp_le_u32_e32 vcc, s25, v3
	v_add_co_u32_e64 v10, s[0:1], 1, v6
	v_cndmask_b32_e64 v5, 0, -1, vcc
	v_cmp_le_u32_e32 vcc, s24, v2
	v_addc_co_u32_e64 v11, s[0:1], 0, v7, s[0:1]
	v_cndmask_b32_e64 v2, 0, -1, vcc
	v_cmp_eq_u32_e32 vcc, s25, v3
	v_cmp_ne_u32_e64 s[0:1], 0, v4
	v_cndmask_b32_e32 v2, v5, v2, vcc
	v_cndmask_b32_e64 v4, v11, v9, s[0:1]
	v_cmp_ne_u32_e32 vcc, 0, v2
	v_cndmask_b32_e64 v2, v10, v8, s[0:1]
	v_cndmask_b32_e32 v5, v7, v4, vcc
	v_cndmask_b32_e32 v4, v6, v2, vcc
                                        ; implicit-def: $vgpr2_vgpr3
.LBB15_7:
	s_andn2_saveexec_b64 s[0:1], s[2:3]
	s_cbranch_execz .LBB15_9
; %bb.8:
	v_cvt_f32_u32_e32 v3, s24
	s_sub_i32 s2, 0, s24
	v_rcp_iflag_f32_e32 v3, v3
	v_mul_f32_e32 v3, 0x4f7ffffe, v3
	v_cvt_u32_f32_e32 v3, v3
	v_mul_lo_u32 v4, s2, v3
	v_mul_hi_u32 v4, v3, v4
	v_add_u32_e32 v3, v3, v4
	v_mul_hi_u32 v3, v2, v3
	v_mul_lo_u32 v4, v3, s24
	v_add_u32_e32 v5, 1, v3
	v_sub_u32_e32 v2, v2, v4
	v_subrev_u32_e32 v4, s24, v2
	v_cmp_le_u32_e32 vcc, s24, v2
	v_cndmask_b32_e32 v2, v2, v4, vcc
	v_cndmask_b32_e32 v3, v3, v5, vcc
	v_add_u32_e32 v4, 1, v3
	v_cmp_le_u32_e32 vcc, s24, v2
	v_cndmask_b32_e32 v4, v3, v4, vcc
	v_mov_b32_e32 v5, 0
.LBB15_9:
	s_or_b64 exec, exec, s[0:1]
	v_or_b32_e32 v3, s21, v5
	v_mov_b32_e32 v2, 0
	v_cmp_ne_u64_e32 vcc, 0, v[2:3]
                                        ; implicit-def: $vgpr2_vgpr3
	s_and_saveexec_b64 s[0:1], vcc
	s_xor_b64 s[2:3], exec, s[0:1]
	s_cbranch_execz .LBB15_11
; %bb.10:
	v_cvt_f32_u32_e32 v2, s20
	v_cvt_f32_u32_e32 v3, s21
	s_sub_u32 s28, 0, s20
	s_subb_u32 s29, 0, s21
	v_madmk_f32 v2, v3, 0x4f800000, v2
	v_rcp_f32_e32 v2, v2
	v_mul_f32_e32 v2, 0x5f7ffffc, v2
	v_mul_f32_e32 v3, 0x2f800000, v2
	v_trunc_f32_e32 v3, v3
	v_madmk_f32 v2, v3, 0xcf800000, v2
	v_cvt_u32_f32_e32 v3, v3
	v_cvt_u32_f32_e32 v2, v2
	v_readfirstlane_b32 s30, v3
	v_readfirstlane_b32 s0, v2
	s_mul_i32 s1, s28, s30
	s_mul_hi_u32 s33, s28, s0
	s_mul_i32 s31, s29, s0
	s_add_i32 s1, s33, s1
	s_mul_i32 s34, s28, s0
	s_add_i32 s1, s1, s31
	s_mul_i32 s33, s0, s1
	s_mul_hi_u32 s35, s0, s34
	s_mul_hi_u32 s31, s0, s1
	s_add_u32 s33, s35, s33
	s_addc_u32 s31, 0, s31
	s_mul_hi_u32 s36, s30, s34
	s_mul_i32 s34, s30, s34
	s_add_u32 s33, s33, s34
	s_mul_hi_u32 s35, s30, s1
	s_addc_u32 s31, s31, s36
	s_addc_u32 s33, s35, 0
	s_mul_i32 s1, s30, s1
	s_add_u32 s1, s31, s1
	s_addc_u32 s31, 0, s33
	s_add_u32 s33, s0, s1
	s_cselect_b64 s[0:1], -1, 0
	s_cmp_lg_u64 s[0:1], 0
	s_addc_u32 s30, s30, s31
	s_mul_i32 s0, s28, s30
	s_mul_hi_u32 s1, s28, s33
	s_add_i32 s0, s1, s0
	s_mul_i32 s29, s29, s33
	s_add_i32 s0, s0, s29
	s_mul_i32 s28, s28, s33
	s_mul_hi_u32 s29, s30, s28
	s_mul_i32 s31, s30, s28
	s_mul_i32 s35, s33, s0
	s_mul_hi_u32 s28, s33, s28
	s_mul_hi_u32 s34, s33, s0
	s_add_u32 s28, s28, s35
	s_addc_u32 s34, 0, s34
	s_add_u32 s28, s28, s31
	s_mul_hi_u32 s1, s30, s0
	s_addc_u32 s28, s34, s29
	s_addc_u32 s1, s1, 0
	s_mul_i32 s0, s30, s0
	s_add_u32 s0, s28, s0
	s_addc_u32 s28, 0, s1
	s_add_u32 s29, s33, s0
	s_cselect_b64 s[0:1], -1, 0
	s_cmp_lg_u64 s[0:1], 0
	s_addc_u32 s28, s30, s28
	v_mad_u64_u32 v[2:3], s[0:1], v4, s28, 0
	v_mul_hi_u32 v6, v4, s29
	v_add_co_u32_e32 v8, vcc, v6, v2
	v_addc_co_u32_e32 v9, vcc, 0, v3, vcc
	v_mad_u64_u32 v[2:3], s[0:1], v5, s29, 0
	v_mad_u64_u32 v[6:7], s[0:1], v5, s28, 0
	v_add_co_u32_e32 v2, vcc, v8, v2
	v_addc_co_u32_e32 v2, vcc, v9, v3, vcc
	v_addc_co_u32_e32 v3, vcc, 0, v7, vcc
	v_add_co_u32_e32 v2, vcc, v2, v6
	v_addc_co_u32_e32 v3, vcc, 0, v3, vcc
	v_mul_lo_u32 v6, s21, v2
	v_mul_lo_u32 v7, s20, v3
	v_mad_u64_u32 v[2:3], s[0:1], s20, v2, 0
	v_add3_u32 v3, v3, v7, v6
	v_sub_u32_e32 v6, v5, v3
	v_mov_b32_e32 v7, s21
	v_sub_co_u32_e32 v2, vcc, v4, v2
	v_subb_co_u32_e64 v4, s[0:1], v6, v7, vcc
	v_subrev_co_u32_e64 v6, s[0:1], s20, v2
	v_subbrev_co_u32_e64 v4, s[0:1], 0, v4, s[0:1]
	v_cmp_le_u32_e64 s[0:1], s21, v4
	v_subb_co_u32_e32 v3, vcc, v5, v3, vcc
	v_cndmask_b32_e64 v7, 0, -1, s[0:1]
	v_cmp_le_u32_e64 s[0:1], s20, v6
	v_cmp_le_u32_e32 vcc, s21, v3
	v_cndmask_b32_e64 v8, 0, -1, s[0:1]
	v_cmp_eq_u32_e64 s[0:1], s21, v4
	v_cndmask_b32_e64 v5, 0, -1, vcc
	v_cmp_le_u32_e32 vcc, s20, v2
	v_cndmask_b32_e64 v4, v7, v8, s[0:1]
	v_cndmask_b32_e64 v8, 0, -1, vcc
	v_cmp_eq_u32_e32 vcc, s21, v3
	v_subrev_co_u32_e64 v7, s[0:1], s20, v6
	v_cndmask_b32_e32 v3, v5, v8, vcc
	v_cmp_ne_u32_e32 vcc, 0, v4
	v_cndmask_b32_e32 v4, v6, v7, vcc
	v_cmp_ne_u32_e32 vcc, 0, v3
	v_cndmask_b32_e32 v2, v2, v4, vcc
                                        ; implicit-def: $vgpr4_vgpr5
.LBB15_11:
	s_andn2_saveexec_b64 s[0:1], s[2:3]
	s_cbranch_execz .LBB15_13
; %bb.12:
	v_cvt_f32_u32_e32 v2, s20
	s_sub_i32 s2, 0, s20
	v_rcp_iflag_f32_e32 v2, v2
	v_mul_f32_e32 v2, 0x4f7ffffe, v2
	v_cvt_u32_f32_e32 v2, v2
	v_mul_lo_u32 v3, s2, v2
	v_mul_hi_u32 v3, v2, v3
	v_add_u32_e32 v2, v2, v3
	v_mul_hi_u32 v2, v4, v2
	v_mul_lo_u32 v2, v2, s20
	v_sub_u32_e32 v2, v4, v2
	v_subrev_u32_e32 v3, s20, v2
	v_cmp_le_u32_e32 vcc, s20, v2
	v_cndmask_b32_e32 v2, v2, v3, vcc
	v_subrev_u32_e32 v3, s20, v2
	v_cmp_le_u32_e32 vcc, s20, v2
	v_cndmask_b32_e32 v2, v2, v3, vcc
.LBB15_13:
	s_or_b64 exec, exec, s[0:1]
	v_or_b32_e32 v4, s25, v1
	v_mov_b32_e32 v3, 0
	v_cmp_ne_u64_e32 vcc, 0, v[3:4]
                                        ; implicit-def: $vgpr3_vgpr4
	s_and_saveexec_b64 s[0:1], vcc
	s_xor_b64 s[2:3], exec, s[0:1]
	s_cbranch_execz .LBB15_15
; %bb.14:
	v_cvt_f32_u32_e32 v3, s24
	v_cvt_f32_u32_e32 v4, s25
	s_sub_u32 s20, 0, s24
	s_subb_u32 s21, 0, s25
	v_madmk_f32 v3, v4, 0x4f800000, v3
	v_rcp_f32_e32 v3, v3
	v_mul_f32_e32 v3, 0x5f7ffffc, v3
	v_mul_f32_e32 v4, 0x2f800000, v3
	v_trunc_f32_e32 v4, v4
	v_madmk_f32 v3, v4, 0xcf800000, v3
	v_cvt_u32_f32_e32 v4, v4
	v_cvt_u32_f32_e32 v3, v3
	v_readfirstlane_b32 s28, v4
	v_readfirstlane_b32 s0, v3
	s_mul_i32 s1, s20, s28
	s_mul_hi_u32 s30, s20, s0
	s_mul_i32 s29, s21, s0
	s_add_i32 s1, s30, s1
	s_mul_i32 s31, s20, s0
	s_add_i32 s1, s1, s29
	s_mul_i32 s30, s0, s1
	s_mul_hi_u32 s33, s0, s31
	s_mul_hi_u32 s29, s0, s1
	s_add_u32 s30, s33, s30
	s_addc_u32 s29, 0, s29
	s_mul_hi_u32 s34, s28, s31
	s_mul_i32 s31, s28, s31
	s_add_u32 s30, s30, s31
	s_mul_hi_u32 s33, s28, s1
	s_addc_u32 s29, s29, s34
	s_addc_u32 s30, s33, 0
	s_mul_i32 s1, s28, s1
	s_add_u32 s1, s29, s1
	s_addc_u32 s29, 0, s30
	s_add_u32 s30, s0, s1
	s_cselect_b64 s[0:1], -1, 0
	s_cmp_lg_u64 s[0:1], 0
	s_addc_u32 s28, s28, s29
	s_mul_i32 s0, s20, s28
	s_mul_hi_u32 s1, s20, s30
	s_add_i32 s0, s1, s0
	s_mul_i32 s21, s21, s30
	s_add_i32 s0, s0, s21
	s_mul_i32 s20, s20, s30
	s_mul_hi_u32 s21, s28, s20
	s_mul_i32 s29, s28, s20
	s_mul_i32 s33, s30, s0
	s_mul_hi_u32 s20, s30, s20
	s_mul_hi_u32 s31, s30, s0
	s_add_u32 s20, s20, s33
	s_addc_u32 s31, 0, s31
	s_add_u32 s20, s20, s29
	s_mul_hi_u32 s1, s28, s0
	s_addc_u32 s20, s31, s21
	s_addc_u32 s1, s1, 0
	s_mul_i32 s0, s28, s0
	s_add_u32 s0, s20, s0
	s_addc_u32 s20, 0, s1
	s_add_u32 s21, s30, s0
	s_cselect_b64 s[0:1], -1, 0
	s_cmp_lg_u64 s[0:1], 0
	s_addc_u32 s20, s28, s20
	v_mad_u64_u32 v[3:4], s[0:1], v0, s20, 0
	v_mul_hi_u32 v5, v0, s21
	v_add_co_u32_e32 v7, vcc, v5, v3
	v_addc_co_u32_e32 v8, vcc, 0, v4, vcc
	v_mad_u64_u32 v[3:4], s[0:1], v1, s21, 0
	v_mad_u64_u32 v[5:6], s[0:1], v1, s20, 0
	v_add_co_u32_e32 v3, vcc, v7, v3
	v_addc_co_u32_e32 v3, vcc, v8, v4, vcc
	v_addc_co_u32_e32 v4, vcc, 0, v6, vcc
	v_add_co_u32_e32 v5, vcc, v3, v5
	v_addc_co_u32_e32 v6, vcc, 0, v4, vcc
	v_mul_lo_u32 v7, s25, v5
	v_mul_lo_u32 v8, s24, v6
	v_mad_u64_u32 v[3:4], s[0:1], s24, v5, 0
	v_add3_u32 v4, v4, v8, v7
	v_sub_u32_e32 v7, v1, v4
	v_mov_b32_e32 v8, s25
	v_sub_co_u32_e32 v3, vcc, v0, v3
	v_subb_co_u32_e64 v7, s[0:1], v7, v8, vcc
	v_subrev_co_u32_e64 v8, s[0:1], s24, v3
	v_subbrev_co_u32_e64 v7, s[0:1], 0, v7, s[0:1]
	v_cmp_le_u32_e64 s[0:1], s25, v7
	v_cndmask_b32_e64 v9, 0, -1, s[0:1]
	v_cmp_le_u32_e64 s[0:1], s24, v8
	v_cndmask_b32_e64 v8, 0, -1, s[0:1]
	v_cmp_eq_u32_e64 s[0:1], s25, v7
	v_cndmask_b32_e64 v7, v9, v8, s[0:1]
	v_add_co_u32_e64 v8, s[0:1], 2, v5
	v_addc_co_u32_e64 v9, s[0:1], 0, v6, s[0:1]
	v_add_co_u32_e64 v10, s[0:1], 1, v5
	v_addc_co_u32_e64 v11, s[0:1], 0, v6, s[0:1]
	v_subb_co_u32_e32 v4, vcc, v1, v4, vcc
	v_cmp_ne_u32_e64 s[0:1], 0, v7
	v_cmp_le_u32_e32 vcc, s25, v4
	v_cndmask_b32_e64 v7, v11, v9, s[0:1]
	v_cndmask_b32_e64 v9, 0, -1, vcc
	v_cmp_le_u32_e32 vcc, s24, v3
	v_cndmask_b32_e64 v3, 0, -1, vcc
	v_cmp_eq_u32_e32 vcc, s25, v4
	v_cndmask_b32_e32 v3, v9, v3, vcc
	v_cmp_ne_u32_e32 vcc, 0, v3
	v_cndmask_b32_e64 v3, v10, v8, s[0:1]
	v_cndmask_b32_e32 v4, v6, v7, vcc
	v_cndmask_b32_e32 v3, v5, v3, vcc
.LBB15_15:
	s_andn2_saveexec_b64 s[0:1], s[2:3]
	s_cbranch_execz .LBB15_17
; %bb.16:
	v_cvt_f32_u32_e32 v3, s24
	s_sub_i32 s2, 0, s24
	v_rcp_iflag_f32_e32 v3, v3
	v_mul_f32_e32 v3, 0x4f7ffffe, v3
	v_cvt_u32_f32_e32 v3, v3
	v_mul_lo_u32 v4, s2, v3
	v_mul_hi_u32 v4, v3, v4
	v_add_u32_e32 v3, v3, v4
	v_mul_hi_u32 v3, v0, v3
	v_mul_lo_u32 v4, v3, s24
	v_add_u32_e32 v5, 1, v3
	v_sub_u32_e32 v4, v0, v4
	v_subrev_u32_e32 v6, s24, v4
	v_cmp_le_u32_e32 vcc, s24, v4
	v_cndmask_b32_e32 v4, v4, v6, vcc
	v_cndmask_b32_e32 v3, v3, v5, vcc
	v_add_u32_e32 v5, 1, v3
	v_cmp_le_u32_e32 vcc, s24, v4
	v_cndmask_b32_e32 v3, v3, v5, vcc
	v_mov_b32_e32 v4, 0
.LBB15_17:
	s_or_b64 exec, exec, s[0:1]
	v_or_b32_e32 v6, s23, v4
	v_mov_b32_e32 v5, 0
	v_cmp_ne_u64_e32 vcc, 0, v[5:6]
                                        ; implicit-def: $vgpr5_vgpr6
	s_and_saveexec_b64 s[0:1], vcc
	s_xor_b64 s[2:3], exec, s[0:1]
	s_cbranch_execnz .LBB15_20
; %bb.18:
	s_andn2_saveexec_b64 s[0:1], s[2:3]
	s_cbranch_execnz .LBB15_21
.LBB15_19:
	s_or_b64 exec, exec, s[0:1]
	s_cmp_eq_u64 s[10:11], 0
	s_cbranch_scc0 .LBB15_22
	s_branch .LBB15_44
.LBB15_20:
	v_cvt_f32_u32_e32 v5, s22
	v_cvt_f32_u32_e32 v6, s23
	s_sub_u32 s20, 0, s22
	s_subb_u32 s21, 0, s23
	v_madmk_f32 v5, v6, 0x4f800000, v5
	v_rcp_f32_e32 v5, v5
	v_mul_f32_e32 v5, 0x5f7ffffc, v5
	v_mul_f32_e32 v6, 0x2f800000, v5
	v_trunc_f32_e32 v6, v6
	v_madmk_f32 v5, v6, 0xcf800000, v5
	v_cvt_u32_f32_e32 v6, v6
	v_cvt_u32_f32_e32 v5, v5
	v_readfirstlane_b32 s28, v6
	v_readfirstlane_b32 s0, v5
	s_mul_i32 s1, s20, s28
	s_mul_hi_u32 s30, s20, s0
	s_mul_i32 s29, s21, s0
	s_add_i32 s1, s30, s1
	s_mul_i32 s31, s20, s0
	s_add_i32 s1, s1, s29
	s_mul_i32 s30, s0, s1
	s_mul_hi_u32 s33, s0, s31
	s_mul_hi_u32 s29, s0, s1
	s_add_u32 s30, s33, s30
	s_addc_u32 s29, 0, s29
	s_mul_hi_u32 s34, s28, s31
	s_mul_i32 s31, s28, s31
	s_add_u32 s30, s30, s31
	s_mul_hi_u32 s33, s28, s1
	s_addc_u32 s29, s29, s34
	s_addc_u32 s30, s33, 0
	s_mul_i32 s1, s28, s1
	s_add_u32 s1, s29, s1
	s_addc_u32 s29, 0, s30
	s_add_u32 s30, s0, s1
	s_cselect_b64 s[0:1], -1, 0
	s_cmp_lg_u64 s[0:1], 0
	s_addc_u32 s28, s28, s29
	s_mul_i32 s0, s20, s28
	s_mul_hi_u32 s1, s20, s30
	s_add_i32 s0, s1, s0
	s_mul_i32 s21, s21, s30
	s_add_i32 s0, s0, s21
	s_mul_i32 s20, s20, s30
	s_mul_hi_u32 s21, s28, s20
	s_mul_i32 s29, s28, s20
	s_mul_i32 s33, s30, s0
	s_mul_hi_u32 s20, s30, s20
	s_mul_hi_u32 s31, s30, s0
	s_add_u32 s20, s20, s33
	s_addc_u32 s31, 0, s31
	s_add_u32 s20, s20, s29
	s_mul_hi_u32 s1, s28, s0
	s_addc_u32 s20, s31, s21
	s_addc_u32 s1, s1, 0
	s_mul_i32 s0, s28, s0
	s_add_u32 s0, s20, s0
	s_addc_u32 s20, 0, s1
	s_add_u32 s21, s30, s0
	s_cselect_b64 s[0:1], -1, 0
	s_cmp_lg_u64 s[0:1], 0
	s_addc_u32 s20, s28, s20
	v_mad_u64_u32 v[5:6], s[0:1], v3, s20, 0
	v_mul_hi_u32 v7, v3, s21
	v_add_co_u32_e32 v9, vcc, v7, v5
	v_addc_co_u32_e32 v10, vcc, 0, v6, vcc
	v_mad_u64_u32 v[5:6], s[0:1], v4, s21, 0
	v_mad_u64_u32 v[7:8], s[0:1], v4, s20, 0
	v_add_co_u32_e32 v5, vcc, v9, v5
	v_addc_co_u32_e32 v5, vcc, v10, v6, vcc
	v_addc_co_u32_e32 v6, vcc, 0, v8, vcc
	v_add_co_u32_e32 v5, vcc, v5, v7
	v_addc_co_u32_e32 v6, vcc, 0, v6, vcc
	v_mul_lo_u32 v7, s23, v5
	v_mul_lo_u32 v8, s22, v6
	v_mad_u64_u32 v[5:6], s[0:1], s22, v5, 0
	v_add3_u32 v6, v6, v8, v7
	v_sub_u32_e32 v7, v4, v6
	v_mov_b32_e32 v8, s23
	v_sub_co_u32_e32 v5, vcc, v3, v5
	v_subb_co_u32_e64 v7, s[0:1], v7, v8, vcc
	v_subrev_co_u32_e64 v8, s[0:1], s22, v5
	v_subbrev_co_u32_e64 v7, s[0:1], 0, v7, s[0:1]
	v_cmp_le_u32_e64 s[0:1], s23, v7
	v_subb_co_u32_e32 v4, vcc, v4, v6, vcc
	v_cndmask_b32_e64 v9, 0, -1, s[0:1]
	v_cmp_le_u32_e64 s[0:1], s22, v8
	v_cmp_le_u32_e32 vcc, s23, v4
	v_cndmask_b32_e64 v10, 0, -1, s[0:1]
	v_cmp_eq_u32_e64 s[0:1], s23, v7
	v_cndmask_b32_e64 v6, 0, -1, vcc
	v_cmp_le_u32_e32 vcc, s22, v5
	v_cndmask_b32_e64 v7, v9, v10, s[0:1]
	v_cndmask_b32_e64 v10, 0, -1, vcc
	v_cmp_eq_u32_e32 vcc, s23, v4
	v_subrev_co_u32_e64 v9, s[0:1], s22, v8
	v_cndmask_b32_e32 v4, v6, v10, vcc
	v_cmp_ne_u32_e32 vcc, 0, v7
	v_cndmask_b32_e32 v6, v8, v9, vcc
	v_cmp_ne_u32_e32 vcc, 0, v4
	v_cndmask_b32_e32 v5, v5, v6, vcc
	s_andn2_saveexec_b64 s[0:1], s[2:3]
	s_cbranch_execz .LBB15_19
.LBB15_21:
	v_cvt_f32_u32_e32 v4, s22
	s_sub_i32 s2, 0, s22
	v_rcp_iflag_f32_e32 v4, v4
	v_mul_f32_e32 v4, 0x4f7ffffe, v4
	v_cvt_u32_f32_e32 v4, v4
	v_mul_lo_u32 v5, s2, v4
	v_mul_hi_u32 v5, v4, v5
	v_add_u32_e32 v4, v4, v5
	v_mul_hi_u32 v4, v3, v4
	v_mul_lo_u32 v4, v4, s22
	v_sub_u32_e32 v4, v3, v4
	v_subrev_u32_e32 v5, s22, v4
	v_cmp_le_u32_e32 vcc, s22, v4
	v_cndmask_b32_e32 v4, v4, v5, vcc
	v_subrev_u32_e32 v5, s22, v4
	v_cmp_le_u32_e32 vcc, s22, v4
	v_cndmask_b32_e32 v5, v4, v5, vcc
	s_or_b64 exec, exec, s[0:1]
	s_cmp_eq_u64 s[10:11], 0
	s_cbranch_scc1 .LBB15_44
.LBB15_22:
	s_mul_i32 s0, s6, s25
	s_mul_hi_u32 s1, s6, s24
	s_add_i32 s0, s1, s0
	s_mul_i32 s7, s7, s24
	s_add_i32 s22, s0, s7
	v_or_b32_e32 v7, s22, v1
	v_mov_b32_e32 v6, 0
	v_cmp_ne_u64_e32 vcc, 0, v[6:7]
	s_mul_i32 s23, s6, s24
                                        ; implicit-def: $vgpr8_vgpr9
	s_and_saveexec_b64 s[0:1], vcc
	s_xor_b64 s[2:3], exec, s[0:1]
	s_cbranch_execz .LBB15_24
; %bb.23:
	s_ashr_i32 s6, s22, 31
	s_add_u32 s0, s23, s6
	s_mov_b32 s7, s6
	s_addc_u32 s1, s22, s6
	s_xor_b64 s[20:21], s[0:1], s[6:7]
	v_cvt_f32_u32_e32 v4, s20
	v_cvt_f32_u32_e32 v6, s21
	s_sub_u32 s7, 0, s20
	s_subb_u32 s25, 0, s21
	v_madmk_f32 v4, v6, 0x4f800000, v4
	v_rcp_f32_e32 v4, v4
	v_mul_f32_e32 v4, 0x5f7ffffc, v4
	v_mul_f32_e32 v6, 0x2f800000, v4
	v_trunc_f32_e32 v6, v6
	v_madmk_f32 v4, v6, 0xcf800000, v4
	v_cvt_u32_f32_e32 v6, v6
	v_cvt_u32_f32_e32 v4, v4
	v_readfirstlane_b32 s28, v6
	v_readfirstlane_b32 s0, v4
	s_mul_i32 s1, s7, s28
	s_mul_hi_u32 s30, s7, s0
	s_mul_i32 s29, s25, s0
	s_add_i32 s1, s30, s1
	s_add_i32 s1, s1, s29
	s_mul_i32 s31, s7, s0
	s_mul_i32 s30, s0, s1
	s_mul_hi_u32 s33, s0, s31
	s_mul_hi_u32 s29, s0, s1
	s_add_u32 s30, s33, s30
	s_addc_u32 s29, 0, s29
	s_mul_hi_u32 s34, s28, s31
	s_mul_i32 s31, s28, s31
	s_add_u32 s30, s30, s31
	s_mul_hi_u32 s33, s28, s1
	s_addc_u32 s29, s29, s34
	s_addc_u32 s30, s33, 0
	s_mul_i32 s1, s28, s1
	s_add_u32 s1, s29, s1
	s_addc_u32 s29, 0, s30
	s_add_u32 s30, s0, s1
	s_cselect_b64 s[0:1], -1, 0
	s_cmp_lg_u64 s[0:1], 0
	s_addc_u32 s28, s28, s29
	s_mul_i32 s0, s7, s28
	s_mul_hi_u32 s1, s7, s30
	s_add_i32 s0, s1, s0
	s_mul_i32 s25, s25, s30
	s_add_i32 s0, s0, s25
	s_mul_i32 s7, s7, s30
	s_mul_hi_u32 s25, s28, s7
	s_mul_i32 s29, s28, s7
	s_mul_i32 s33, s30, s0
	s_mul_hi_u32 s7, s30, s7
	s_mul_hi_u32 s31, s30, s0
	s_add_u32 s7, s7, s33
	s_addc_u32 s31, 0, s31
	s_add_u32 s7, s7, s29
	s_mul_hi_u32 s1, s28, s0
	s_addc_u32 s7, s31, s25
	s_addc_u32 s1, s1, 0
	s_mul_i32 s0, s28, s0
	s_add_u32 s0, s7, s0
	s_addc_u32 s7, 0, s1
	s_add_u32 s25, s30, s0
	s_cselect_b64 s[0:1], -1, 0
	v_ashrrev_i32_e32 v4, 31, v1
	s_cmp_lg_u64 s[0:1], 0
	v_add_co_u32_e32 v6, vcc, v0, v4
	s_addc_u32 s7, s28, s7
	v_xor_b32_e32 v10, v6, v4
	v_mad_u64_u32 v[6:7], s[0:1], v10, s7, 0
	v_mul_hi_u32 v9, v10, s25
	v_addc_co_u32_e32 v8, vcc, v1, v4, vcc
	v_xor_b32_e32 v11, v8, v4
	v_add_co_u32_e32 v12, vcc, v9, v6
	v_addc_co_u32_e32 v13, vcc, 0, v7, vcc
	v_mad_u64_u32 v[6:7], s[0:1], v11, s25, 0
	v_mad_u64_u32 v[8:9], s[0:1], v11, s7, 0
	v_add_co_u32_e32 v6, vcc, v12, v6
	v_addc_co_u32_e32 v6, vcc, v13, v7, vcc
	v_addc_co_u32_e32 v7, vcc, 0, v9, vcc
	v_add_co_u32_e32 v8, vcc, v6, v8
	v_addc_co_u32_e32 v9, vcc, 0, v7, vcc
	v_mul_lo_u32 v12, s21, v8
	v_mul_lo_u32 v13, s20, v9
	v_mad_u64_u32 v[6:7], s[0:1], s20, v8, 0
	v_xor_b32_e32 v4, s6, v4
	v_add3_u32 v7, v7, v13, v12
	v_sub_u32_e32 v12, v11, v7
	v_mov_b32_e32 v13, s21
	v_sub_co_u32_e32 v6, vcc, v10, v6
	v_subb_co_u32_e64 v10, s[0:1], v12, v13, vcc
	v_subrev_co_u32_e64 v12, s[0:1], s20, v6
	v_subbrev_co_u32_e64 v10, s[0:1], 0, v10, s[0:1]
	v_cmp_le_u32_e64 s[0:1], s21, v10
	v_cndmask_b32_e64 v13, 0, -1, s[0:1]
	v_cmp_le_u32_e64 s[0:1], s20, v12
	v_cndmask_b32_e64 v12, 0, -1, s[0:1]
	v_cmp_eq_u32_e64 s[0:1], s21, v10
	v_cndmask_b32_e64 v10, v13, v12, s[0:1]
	v_add_co_u32_e64 v12, s[0:1], 2, v8
	v_subb_co_u32_e32 v7, vcc, v11, v7, vcc
	v_addc_co_u32_e64 v13, s[0:1], 0, v9, s[0:1]
	v_cmp_le_u32_e32 vcc, s21, v7
	v_add_co_u32_e64 v14, s[0:1], 1, v8
	v_cndmask_b32_e64 v11, 0, -1, vcc
	v_cmp_le_u32_e32 vcc, s20, v6
	v_addc_co_u32_e64 v15, s[0:1], 0, v9, s[0:1]
	v_cndmask_b32_e64 v6, 0, -1, vcc
	v_cmp_eq_u32_e32 vcc, s21, v7
	v_cmp_ne_u32_e64 s[0:1], 0, v10
	v_cndmask_b32_e32 v6, v11, v6, vcc
	v_cmp_ne_u32_e32 vcc, 0, v6
	v_cndmask_b32_e64 v7, v14, v12, s[0:1]
	v_cndmask_b32_e64 v10, v15, v13, s[0:1]
	v_cndmask_b32_e32 v7, v8, v7, vcc
	v_cndmask_b32_e32 v6, v9, v10, vcc
	v_xor_b32_e32 v7, v7, v4
	v_xor_b32_e32 v6, v6, v4
	v_sub_co_u32_e32 v8, vcc, v7, v4
	v_subb_co_u32_e32 v9, vcc, v6, v4, vcc
.LBB15_24:
	s_andn2_saveexec_b64 s[0:1], s[2:3]
	s_cbranch_execz .LBB15_26
; %bb.25:
	v_cvt_f32_u32_e32 v4, s23
	s_sub_i32 s2, 0, s23
	v_mov_b32_e32 v9, 0
	v_rcp_iflag_f32_e32 v4, v4
	v_mul_f32_e32 v4, 0x4f7ffffe, v4
	v_cvt_u32_f32_e32 v4, v4
	v_mul_lo_u32 v6, s2, v4
	v_mul_hi_u32 v6, v4, v6
	v_add_u32_e32 v4, v4, v6
	v_mul_hi_u32 v4, v0, v4
	v_mul_lo_u32 v6, v4, s23
	v_add_u32_e32 v7, 1, v4
	v_sub_u32_e32 v6, v0, v6
	v_subrev_u32_e32 v8, s23, v6
	v_cmp_le_u32_e32 vcc, s23, v6
	v_cndmask_b32_e32 v6, v6, v8, vcc
	v_cndmask_b32_e32 v4, v4, v7, vcc
	v_add_u32_e32 v7, 1, v4
	v_cmp_le_u32_e32 vcc, s23, v6
	v_cndmask_b32_e32 v8, v4, v7, vcc
.LBB15_26:
	s_or_b64 exec, exec, s[0:1]
	v_or_b32_e32 v7, s13, v9
	v_mov_b32_e32 v6, 0
	v_cmp_ne_u64_e32 vcc, 0, v[6:7]
                                        ; implicit-def: $vgpr6_vgpr7
	s_and_saveexec_b64 s[0:1], vcc
	s_xor_b64 s[2:3], exec, s[0:1]
	s_cbranch_execz .LBB15_28
; %bb.27:
	v_cvt_f32_u32_e32 v4, s12
	v_cvt_f32_u32_e32 v6, s13
	s_sub_u32 s6, 0, s12
	s_subb_u32 s7, 0, s13
	v_madmk_f32 v4, v6, 0x4f800000, v4
	v_rcp_f32_e32 v4, v4
	v_mul_f32_e32 v4, 0x5f7ffffc, v4
	v_mul_f32_e32 v6, 0x2f800000, v4
	v_trunc_f32_e32 v6, v6
	v_madmk_f32 v4, v6, 0xcf800000, v4
	v_cvt_u32_f32_e32 v6, v6
	v_cvt_u32_f32_e32 v4, v4
	v_readfirstlane_b32 s20, v6
	v_readfirstlane_b32 s0, v4
	s_mul_i32 s1, s6, s20
	s_mul_hi_u32 s25, s6, s0
	s_mul_i32 s21, s7, s0
	s_add_i32 s1, s25, s1
	s_mul_i32 s28, s6, s0
	s_add_i32 s1, s1, s21
	s_mul_i32 s25, s0, s1
	s_mul_hi_u32 s29, s0, s28
	s_mul_hi_u32 s21, s0, s1
	s_add_u32 s25, s29, s25
	s_addc_u32 s21, 0, s21
	s_mul_hi_u32 s30, s20, s28
	s_mul_i32 s28, s20, s28
	s_add_u32 s25, s25, s28
	s_mul_hi_u32 s29, s20, s1
	s_addc_u32 s21, s21, s30
	s_addc_u32 s25, s29, 0
	s_mul_i32 s1, s20, s1
	s_add_u32 s1, s21, s1
	s_addc_u32 s21, 0, s25
	s_add_u32 s25, s0, s1
	s_cselect_b64 s[0:1], -1, 0
	s_cmp_lg_u64 s[0:1], 0
	s_addc_u32 s20, s20, s21
	s_mul_i32 s0, s6, s20
	s_mul_hi_u32 s1, s6, s25
	s_add_i32 s0, s1, s0
	s_mul_i32 s7, s7, s25
	s_add_i32 s0, s0, s7
	s_mul_i32 s6, s6, s25
	s_mul_hi_u32 s7, s20, s6
	s_mul_i32 s21, s20, s6
	s_mul_i32 s29, s25, s0
	s_mul_hi_u32 s6, s25, s6
	s_mul_hi_u32 s28, s25, s0
	s_add_u32 s6, s6, s29
	s_addc_u32 s28, 0, s28
	s_add_u32 s6, s6, s21
	s_mul_hi_u32 s1, s20, s0
	s_addc_u32 s6, s28, s7
	s_addc_u32 s1, s1, 0
	s_mul_i32 s0, s20, s0
	s_add_u32 s0, s6, s0
	s_addc_u32 s6, 0, s1
	s_add_u32 s7, s25, s0
	s_cselect_b64 s[0:1], -1, 0
	s_cmp_lg_u64 s[0:1], 0
	s_addc_u32 s6, s20, s6
	v_mad_u64_u32 v[6:7], s[0:1], v8, s6, 0
	v_mul_hi_u32 v4, v8, s7
	v_mad_u64_u32 v[10:11], s[0:1], v9, s6, 0
	v_add_co_u32_e32 v4, vcc, v4, v6
	v_addc_co_u32_e32 v12, vcc, 0, v7, vcc
	v_mad_u64_u32 v[6:7], s[0:1], v9, s7, 0
	v_add_co_u32_e32 v4, vcc, v4, v6
	v_addc_co_u32_e32 v4, vcc, v12, v7, vcc
	v_addc_co_u32_e32 v6, vcc, 0, v11, vcc
	v_add_co_u32_e32 v4, vcc, v4, v10
	v_addc_co_u32_e32 v6, vcc, 0, v6, vcc
	v_mul_lo_u32 v10, s13, v4
	v_mul_lo_u32 v11, s12, v6
	v_mad_u64_u32 v[6:7], s[0:1], s12, v4, 0
	v_add3_u32 v4, v7, v11, v10
	v_sub_u32_e32 v7, v9, v4
	v_mov_b32_e32 v10, s13
	v_sub_co_u32_e32 v6, vcc, v8, v6
	v_subb_co_u32_e64 v7, s[0:1], v7, v10, vcc
	v_subrev_co_u32_e64 v8, s[0:1], s12, v6
	v_subbrev_co_u32_e64 v7, s[0:1], 0, v7, s[0:1]
	v_cmp_le_u32_e64 s[0:1], s13, v7
	v_subb_co_u32_e32 v4, vcc, v9, v4, vcc
	v_cndmask_b32_e64 v10, 0, -1, s[0:1]
	v_cmp_le_u32_e64 s[0:1], s12, v8
	v_cmp_le_u32_e32 vcc, s13, v4
	v_cndmask_b32_e64 v11, 0, -1, s[0:1]
	v_cmp_eq_u32_e64 s[0:1], s13, v7
	v_cndmask_b32_e64 v9, 0, -1, vcc
	v_cmp_le_u32_e32 vcc, s12, v6
	v_cndmask_b32_e64 v7, v10, v11, s[0:1]
	v_cndmask_b32_e64 v11, 0, -1, vcc
	v_cmp_eq_u32_e32 vcc, s13, v4
	v_subrev_co_u32_e64 v10, s[0:1], s12, v8
	v_cndmask_b32_e32 v4, v9, v11, vcc
	v_cmp_ne_u32_e32 vcc, 0, v7
	v_cndmask_b32_e32 v7, v8, v10, vcc
	v_cmp_ne_u32_e32 vcc, 0, v4
	v_cndmask_b32_e32 v6, v6, v7, vcc
                                        ; implicit-def: $vgpr8_vgpr9
.LBB15_28:
	s_andn2_saveexec_b64 s[0:1], s[2:3]
	s_cbranch_execz .LBB15_30
; %bb.29:
	v_cvt_f32_u32_e32 v4, s12
	s_sub_i32 s2, 0, s12
	v_rcp_iflag_f32_e32 v4, v4
	v_mul_f32_e32 v4, 0x4f7ffffe, v4
	v_cvt_u32_f32_e32 v4, v4
	v_mul_lo_u32 v6, s2, v4
	v_mul_hi_u32 v6, v4, v6
	v_add_u32_e32 v4, v4, v6
	v_mul_hi_u32 v4, v8, v4
	v_mul_lo_u32 v4, v4, s12
	v_sub_u32_e32 v4, v8, v4
	v_subrev_u32_e32 v6, s12, v4
	v_cmp_le_u32_e32 vcc, s12, v4
	v_cndmask_b32_e32 v4, v4, v6, vcc
	v_subrev_u32_e32 v6, s12, v4
	v_cmp_le_u32_e32 vcc, s12, v4
	v_cndmask_b32_e32 v6, v4, v6, vcc
.LBB15_30:
	s_or_b64 exec, exec, s[0:1]
	s_mul_i32 s0, s18, s17
	s_mul_hi_u32 s1, s18, s16
	s_add_i32 s0, s1, s0
	s_mul_i32 s1, s19, s16
	s_add_i32 s30, s0, s1
	s_load_dwordx4 s[0:3], s[4:5], 0x50
	v_cvt_f32_i32_e32 v4, v5
	v_add_u32_e32 v5, 1, v5
	v_cvt_f32_i32_e32 v5, v5
	v_mul_lo_u32 v3, v3, s24
	s_waitcnt lgkmcnt(0)
	v_fma_f32 v4, s1, v4, -0.5
	v_ceil_f32_e32 v4, v4
	v_fma_f32 v5, s1, v5, -0.5
	v_ceil_f32_e32 v5, v5
	v_sub_u32_e32 v3, v0, v3
	v_cvt_i32_f32_e32 v5, v5
	v_cvt_f32_i32_e32 v7, v3
	v_add_u32_e32 v3, 1, v3
	v_cvt_f32_i32_e32 v3, v3
	v_min_i32_e32 v9, s16, v5
	v_fma_f32 v5, s2, v7, -0.5
	v_cvt_f32_i32_e32 v7, v2
	v_add_u32_e32 v2, 1, v2
	v_cvt_f32_i32_e32 v2, v2
	v_fma_f32 v3, s2, v3, -0.5
	v_ceil_f32_e32 v3, v3
	v_fma_f32 v7, s0, v7, -0.5
	v_fma_f32 v2, s0, v2, -0.5
	v_ceil_f32_e32 v2, v2
	v_ceil_f32_e32 v5, v5
	v_cvt_i32_f32_e32 v3, v3
	v_ceil_f32_e32 v7, v7
	v_cvt_i32_f32_e32 v2, v2
	v_cvt_i32_f32_e32 v4, v4
	;; [unrolled: 1-line block ×4, first 2 shown]
	s_mul_i32 s31, s18, s16
	s_mul_i32 s0, s31, s15
	s_mul_hi_u32 s1, s31, s14
	s_mul_i32 s6, s23, s13
	s_mul_hi_u32 s7, s23, s12
	v_min_i32_e32 v11, s18, v3
	v_min_i32_e32 v13, s14, v2
	s_add_i32 s0, s1, s0
	s_mul_i32 s1, s30, s14
	s_add_i32 s6, s7, s6
	s_mul_i32 s7, s22, s12
	v_min_i32_e32 v8, s16, v4
	v_min_i32_e32 v10, s18, v5
	;; [unrolled: 1-line block ×3, first 2 shown]
	s_add_i32 s33, s0, s1
	s_mul_i32 s34, s31, s14
	v_cmp_gt_i32_e64 s[0:1], v13, v7
	v_cmp_gt_i32_e64 s[2:3], v9, v4
	;; [unrolled: 1-line block ×3, first 2 shown]
	v_ashrrev_i32_e32 v7, 31, v6
	s_add_i32 s35, s6, s7
	s_mul_i32 s36, s23, s12
	s_mov_b64 s[14:15], 0
	s_branch .LBB15_33
.LBB15_31:                              ;   in Loop: Header=BB15_33 Depth=1
	s_or_b64 exec, exec, s[16:17]
.LBB15_32:                              ;   in Loop: Header=BB15_33 Depth=1
	s_or_b64 exec, exec, s[6:7]
	v_lshlrev_b64 v[4:5], 3, v[0:1]
	v_mov_b32_e32 v14, s27
	v_add_co_u32_e32 v4, vcc, s26, v4
	v_addc_co_u32_e32 v5, vcc, v14, v5, vcc
	s_add_u32 s14, s14, 1
	global_store_dwordx2 v[4:5], v[2:3], off
	s_addc_u32 s15, s15, 0
	v_mov_b32_e32 v2, s14
	v_mov_b32_e32 v3, s15
	v_cmp_le_u64_e32 vcc, s[10:11], v[2:3]
	v_mov_b32_e32 v4, s35
	v_add_co_u32_e64 v0, s[6:7], s36, v0
	v_addc_co_u32_e64 v1, s[6:7], v1, v4, s[6:7]
	s_cbranch_vccnz .LBB15_44
.LBB15_33:                              ; =>This Loop Header: Depth=1
                                        ;     Child Loop BB15_37 Depth 2
                                        ;       Child Loop BB15_40 Depth 3
                                        ;         Child Loop BB15_42 Depth 4
	v_mov_b32_e32 v2, 0
	v_mov_b32_e32 v3, 0
	s_and_saveexec_b64 s[6:7], s[0:1]
	s_cbranch_execz .LBB15_32
; %bb.34:                               ;   in Loop: Header=BB15_33 Depth=1
	v_mov_b32_e32 v2, s12
	v_mad_u64_u32 v[2:3], s[16:17], s14, v2, v[6:7]
	s_mul_i32 s16, s15, s12
	s_mul_i32 s17, s14, s13
	s_add_i32 s17, s17, s16
	v_add_u32_e32 v3, s17, v3
	v_mul_lo_u32 v4, s34, v3
	v_mul_lo_u32 v5, s33, v2
	v_mad_u64_u32 v[2:3], s[16:17], s34, v2, 0
	s_mov_b64 s[16:17], 0
	v_mov_b32_e32 v16, v12
	v_add3_u32 v3, v3, v4, v5
	v_lshlrev_b64 v[2:3], 3, v[2:3]
	v_mov_b32_e32 v4, s9
	v_add_co_u32_e32 v14, vcc, s8, v2
	v_addc_co_u32_e32 v15, vcc, v4, v3, vcc
	v_mov_b32_e32 v2, 0
	v_mov_b32_e32 v3, 0
	s_branch .LBB15_37
.LBB15_35:                              ;   in Loop: Header=BB15_37 Depth=2
	s_or_b64 exec, exec, s[22:23]
.LBB15_36:                              ;   in Loop: Header=BB15_37 Depth=2
	s_or_b64 exec, exec, s[20:21]
	v_add_u32_e32 v16, 1, v16
	v_cmp_ge_i32_e32 vcc, v16, v13
	s_or_b64 s[16:17], vcc, s[16:17]
	s_andn2_b64 exec, exec, s[16:17]
	s_cbranch_execz .LBB15_31
.LBB15_37:                              ;   Parent Loop BB15_33 Depth=1
                                        ; =>  This Loop Header: Depth=2
                                        ;       Child Loop BB15_40 Depth 3
                                        ;         Child Loop BB15_42 Depth 4
	s_and_saveexec_b64 s[20:21], s[2:3]
	s_cbranch_execz .LBB15_36
; %bb.38:                               ;   in Loop: Header=BB15_37 Depth=2
	v_ashrrev_i32_e32 v17, 31, v16
	v_mul_lo_u32 v18, s30, v16
	v_mad_u64_u32 v[4:5], s[22:23], s31, v16, 0
	v_mul_lo_u32 v17, s31, v17
	s_mov_b64 s[22:23], 0
	v_mov_b32_e32 v19, v8
	v_add3_u32 v5, v5, v17, v18
	v_lshlrev_b64 v[4:5], 3, v[4:5]
	v_add_co_u32_e32 v17, vcc, v14, v4
	v_addc_co_u32_e32 v18, vcc, v15, v5, vcc
	s_branch .LBB15_40
.LBB15_39:                              ;   in Loop: Header=BB15_40 Depth=3
	s_or_b64 exec, exec, s[24:25]
	v_add_u32_e32 v19, 1, v19
	v_cmp_ge_i32_e32 vcc, v19, v9
	s_or_b64 s[22:23], vcc, s[22:23]
	s_andn2_b64 exec, exec, s[22:23]
	s_cbranch_execz .LBB15_35
.LBB15_40:                              ;   Parent Loop BB15_33 Depth=1
                                        ;     Parent Loop BB15_37 Depth=2
                                        ; =>    This Loop Header: Depth=3
                                        ;         Child Loop BB15_42 Depth 4
	s_and_saveexec_b64 s[24:25], s[4:5]
	s_cbranch_execz .LBB15_39
; %bb.41:                               ;   in Loop: Header=BB15_40 Depth=3
	v_ashrrev_i32_e32 v20, 31, v19
	v_mul_lo_u32 v21, s19, v19
	v_mad_u64_u32 v[4:5], s[28:29], s18, v19, 0
	v_mul_lo_u32 v20, s18, v20
	s_mov_b64 s[28:29], 0
	v_add3_u32 v5, v5, v20, v21
	v_lshlrev_b64 v[4:5], 3, v[4:5]
	v_add_co_u32_e32 v20, vcc, v17, v4
	v_addc_co_u32_e32 v21, vcc, v18, v5, vcc
	v_mov_b32_e32 v4, v10
.LBB15_42:                              ;   Parent Loop BB15_33 Depth=1
                                        ;     Parent Loop BB15_37 Depth=2
                                        ;       Parent Loop BB15_40 Depth=3
                                        ; =>      This Inner Loop Header: Depth=4
	v_ashrrev_i32_e32 v5, 31, v4
	v_lshlrev_b64 v[22:23], 3, v[4:5]
	v_add_u32_e32 v4, 1, v4
	v_add_co_u32_e32 v22, vcc, v20, v22
	v_addc_co_u32_e32 v23, vcc, v21, v23, vcc
	global_load_dwordx2 v[22:23], v[22:23], off
	v_cmp_ge_i32_e32 vcc, v4, v11
	s_or_b64 s[28:29], vcc, s[28:29]
	s_waitcnt vmcnt(0)
	v_add_f64 v[2:3], v[2:3], v[22:23]
	s_andn2_b64 exec, exec, s[28:29]
	s_cbranch_execnz .LBB15_42
; %bb.43:                               ;   in Loop: Header=BB15_40 Depth=3
	s_or_b64 exec, exec, s[28:29]
	s_branch .LBB15_39
.LBB15_44:
	s_endpgm
	.section	.rodata,"a",@progbits
	.p2align	6, 0x0
	.amdhsa_kernel _ZN2at6native12_GLOBAL__N_137upsample_nearest3d_backward_out_frameIddXadL_ZNS0_46nearest_neighbor_exact_bw_compute_source_indexEfiiEEEEvPKT_mmmmmmmmPS3_fff
		.amdhsa_group_segment_fixed_size 0
		.amdhsa_private_segment_fixed_size 0
		.amdhsa_kernarg_size 352
		.amdhsa_user_sgpr_count 6
		.amdhsa_user_sgpr_private_segment_buffer 1
		.amdhsa_user_sgpr_dispatch_ptr 0
		.amdhsa_user_sgpr_queue_ptr 0
		.amdhsa_user_sgpr_kernarg_segment_ptr 1
		.amdhsa_user_sgpr_dispatch_id 0
		.amdhsa_user_sgpr_flat_scratch_init 0
		.amdhsa_user_sgpr_private_segment_size 0
		.amdhsa_uses_dynamic_stack 0
		.amdhsa_system_sgpr_private_segment_wavefront_offset 0
		.amdhsa_system_sgpr_workgroup_id_x 1
		.amdhsa_system_sgpr_workgroup_id_y 0
		.amdhsa_system_sgpr_workgroup_id_z 0
		.amdhsa_system_sgpr_workgroup_info 0
		.amdhsa_system_vgpr_workitem_id 0
		.amdhsa_next_free_vgpr 24
		.amdhsa_next_free_sgpr 37
		.amdhsa_reserve_vcc 1
		.amdhsa_reserve_flat_scratch 0
		.amdhsa_float_round_mode_32 0
		.amdhsa_float_round_mode_16_64 0
		.amdhsa_float_denorm_mode_32 3
		.amdhsa_float_denorm_mode_16_64 3
		.amdhsa_dx10_clamp 1
		.amdhsa_ieee_mode 1
		.amdhsa_fp16_overflow 0
		.amdhsa_exception_fp_ieee_invalid_op 0
		.amdhsa_exception_fp_denorm_src 0
		.amdhsa_exception_fp_ieee_div_zero 0
		.amdhsa_exception_fp_ieee_overflow 0
		.amdhsa_exception_fp_ieee_underflow 0
		.amdhsa_exception_fp_ieee_inexact 0
		.amdhsa_exception_int_div_zero 0
	.end_amdhsa_kernel
	.section	.text._ZN2at6native12_GLOBAL__N_137upsample_nearest3d_backward_out_frameIddXadL_ZNS0_46nearest_neighbor_exact_bw_compute_source_indexEfiiEEEEvPKT_mmmmmmmmPS3_fff,"axG",@progbits,_ZN2at6native12_GLOBAL__N_137upsample_nearest3d_backward_out_frameIddXadL_ZNS0_46nearest_neighbor_exact_bw_compute_source_indexEfiiEEEEvPKT_mmmmmmmmPS3_fff,comdat
.Lfunc_end15:
	.size	_ZN2at6native12_GLOBAL__N_137upsample_nearest3d_backward_out_frameIddXadL_ZNS0_46nearest_neighbor_exact_bw_compute_source_indexEfiiEEEEvPKT_mmmmmmmmPS3_fff, .Lfunc_end15-_ZN2at6native12_GLOBAL__N_137upsample_nearest3d_backward_out_frameIddXadL_ZNS0_46nearest_neighbor_exact_bw_compute_source_indexEfiiEEEEvPKT_mmmmmmmmPS3_fff
                                        ; -- End function
	.set _ZN2at6native12_GLOBAL__N_137upsample_nearest3d_backward_out_frameIddXadL_ZNS0_46nearest_neighbor_exact_bw_compute_source_indexEfiiEEEEvPKT_mmmmmmmmPS3_fff.num_vgpr, 24
	.set _ZN2at6native12_GLOBAL__N_137upsample_nearest3d_backward_out_frameIddXadL_ZNS0_46nearest_neighbor_exact_bw_compute_source_indexEfiiEEEEvPKT_mmmmmmmmPS3_fff.num_agpr, 0
	.set _ZN2at6native12_GLOBAL__N_137upsample_nearest3d_backward_out_frameIddXadL_ZNS0_46nearest_neighbor_exact_bw_compute_source_indexEfiiEEEEvPKT_mmmmmmmmPS3_fff.numbered_sgpr, 37
	.set _ZN2at6native12_GLOBAL__N_137upsample_nearest3d_backward_out_frameIddXadL_ZNS0_46nearest_neighbor_exact_bw_compute_source_indexEfiiEEEEvPKT_mmmmmmmmPS3_fff.num_named_barrier, 0
	.set _ZN2at6native12_GLOBAL__N_137upsample_nearest3d_backward_out_frameIddXadL_ZNS0_46nearest_neighbor_exact_bw_compute_source_indexEfiiEEEEvPKT_mmmmmmmmPS3_fff.private_seg_size, 0
	.set _ZN2at6native12_GLOBAL__N_137upsample_nearest3d_backward_out_frameIddXadL_ZNS0_46nearest_neighbor_exact_bw_compute_source_indexEfiiEEEEvPKT_mmmmmmmmPS3_fff.uses_vcc, 1
	.set _ZN2at6native12_GLOBAL__N_137upsample_nearest3d_backward_out_frameIddXadL_ZNS0_46nearest_neighbor_exact_bw_compute_source_indexEfiiEEEEvPKT_mmmmmmmmPS3_fff.uses_flat_scratch, 0
	.set _ZN2at6native12_GLOBAL__N_137upsample_nearest3d_backward_out_frameIddXadL_ZNS0_46nearest_neighbor_exact_bw_compute_source_indexEfiiEEEEvPKT_mmmmmmmmPS3_fff.has_dyn_sized_stack, 0
	.set _ZN2at6native12_GLOBAL__N_137upsample_nearest3d_backward_out_frameIddXadL_ZNS0_46nearest_neighbor_exact_bw_compute_source_indexEfiiEEEEvPKT_mmmmmmmmPS3_fff.has_recursion, 0
	.set _ZN2at6native12_GLOBAL__N_137upsample_nearest3d_backward_out_frameIddXadL_ZNS0_46nearest_neighbor_exact_bw_compute_source_indexEfiiEEEEvPKT_mmmmmmmmPS3_fff.has_indirect_call, 0
	.section	.AMDGPU.csdata,"",@progbits
; Kernel info:
; codeLenInByte = 5648
; TotalNumSgprs: 41
; NumVgprs: 24
; ScratchSize: 0
; MemoryBound: 0
; FloatMode: 240
; IeeeMode: 1
; LDSByteSize: 0 bytes/workgroup (compile time only)
; SGPRBlocks: 5
; VGPRBlocks: 5
; NumSGPRsForWavesPerEU: 41
; NumVGPRsForWavesPerEU: 24
; Occupancy: 10
; WaveLimiterHint : 0
; COMPUTE_PGM_RSRC2:SCRATCH_EN: 0
; COMPUTE_PGM_RSRC2:USER_SGPR: 6
; COMPUTE_PGM_RSRC2:TRAP_HANDLER: 0
; COMPUTE_PGM_RSRC2:TGID_X_EN: 1
; COMPUTE_PGM_RSRC2:TGID_Y_EN: 0
; COMPUTE_PGM_RSRC2:TGID_Z_EN: 0
; COMPUTE_PGM_RSRC2:TIDIG_COMP_CNT: 0
	.section	.text._ZN2at6native12_GLOBAL__N_137upsample_nearest3d_backward_out_frameIffXadL_ZNS0_46nearest_neighbor_exact_bw_compute_source_indexEfiiEEEEvPKT_mmmmmmmmPS3_fff,"axG",@progbits,_ZN2at6native12_GLOBAL__N_137upsample_nearest3d_backward_out_frameIffXadL_ZNS0_46nearest_neighbor_exact_bw_compute_source_indexEfiiEEEEvPKT_mmmmmmmmPS3_fff,comdat
	.globl	_ZN2at6native12_GLOBAL__N_137upsample_nearest3d_backward_out_frameIffXadL_ZNS0_46nearest_neighbor_exact_bw_compute_source_indexEfiiEEEEvPKT_mmmmmmmmPS3_fff ; -- Begin function _ZN2at6native12_GLOBAL__N_137upsample_nearest3d_backward_out_frameIffXadL_ZNS0_46nearest_neighbor_exact_bw_compute_source_indexEfiiEEEEvPKT_mmmmmmmmPS3_fff
	.p2align	8
	.type	_ZN2at6native12_GLOBAL__N_137upsample_nearest3d_backward_out_frameIffXadL_ZNS0_46nearest_neighbor_exact_bw_compute_source_indexEfiiEEEEvPKT_mmmmmmmmPS3_fff,@function
_ZN2at6native12_GLOBAL__N_137upsample_nearest3d_backward_out_frameIffXadL_ZNS0_46nearest_neighbor_exact_bw_compute_source_indexEfiiEEEEvPKT_mmmmmmmmPS3_fff: ; @_ZN2at6native12_GLOBAL__N_137upsample_nearest3d_backward_out_frameIffXadL_ZNS0_46nearest_neighbor_exact_bw_compute_source_indexEfiiEEEEvPKT_mmmmmmmmPS3_fff
; %bb.0:
	s_load_dword s0, s[4:5], 0x6c
	s_load_dwordx4 s[24:27], s[4:5], 0x40
	s_load_dwordx16 s[8:23], s[4:5], 0x0
	v_mov_b32_e32 v2, 0
	v_mov_b32_e32 v1, v2
	s_waitcnt lgkmcnt(0)
	s_and_b32 s0, s0, 0xffff
	v_mov_b32_e32 v3, s6
	v_mad_u64_u32 v[0:1], s[0:1], s0, v3, v[0:1]
	s_mul_i32 s0, s22, s21
	s_mul_hi_u32 s1, s22, s20
	s_add_i32 s7, s1, s0
	s_mul_i32 s0, s23, s20
	s_mul_i32 s6, s22, s20
	s_add_i32 s7, s7, s0
	s_mul_i32 s0, s6, s13
	s_mul_hi_u32 s1, s6, s12
	s_add_i32 s0, s1, s0
	s_mul_i32 s1, s7, s12
	s_mul_i32 s2, s6, s12
	s_add_i32 s0, s0, s1
	s_mul_i32 s1, s2, s25
	s_mul_hi_u32 s3, s2, s24
	s_mul_i32 s0, s0, s24
	s_add_i32 s1, s3, s1
	s_add_i32 s1, s1, s0
	s_mul_i32 s0, s2, s24
	v_cmp_gt_u64_e32 vcc, s[0:1], v[0:1]
	s_and_saveexec_b64 s[0:1], vcc
	s_cbranch_execz .LBB16_44
; %bb.1:
	v_or_b32_e32 v3, s23, v1
	v_cmp_ne_u64_e32 vcc, 0, v[2:3]
                                        ; implicit-def: $vgpr2_vgpr3
	s_and_saveexec_b64 s[0:1], vcc
	s_xor_b64 s[2:3], exec, s[0:1]
	s_cbranch_execz .LBB16_3
; %bb.2:
	v_cvt_f32_u32_e32 v2, s22
	v_cvt_f32_u32_e32 v3, s23
	s_sub_u32 s28, 0, s22
	s_subb_u32 s29, 0, s23
	v_madmk_f32 v2, v3, 0x4f800000, v2
	v_rcp_f32_e32 v2, v2
	v_mul_f32_e32 v2, 0x5f7ffffc, v2
	v_mul_f32_e32 v3, 0x2f800000, v2
	v_trunc_f32_e32 v3, v3
	v_madmk_f32 v2, v3, 0xcf800000, v2
	v_cvt_u32_f32_e32 v3, v3
	v_cvt_u32_f32_e32 v2, v2
	v_readfirstlane_b32 s30, v3
	v_readfirstlane_b32 s0, v2
	s_mul_i32 s1, s28, s30
	s_mul_hi_u32 s33, s28, s0
	s_mul_i32 s31, s29, s0
	s_add_i32 s1, s33, s1
	s_mul_i32 s34, s28, s0
	s_add_i32 s1, s1, s31
	s_mul_i32 s33, s0, s1
	s_mul_hi_u32 s35, s0, s34
	s_mul_hi_u32 s31, s0, s1
	s_add_u32 s33, s35, s33
	s_addc_u32 s31, 0, s31
	s_mul_hi_u32 s36, s30, s34
	s_mul_i32 s34, s30, s34
	s_add_u32 s33, s33, s34
	s_mul_hi_u32 s35, s30, s1
	s_addc_u32 s31, s31, s36
	s_addc_u32 s33, s35, 0
	s_mul_i32 s1, s30, s1
	s_add_u32 s1, s31, s1
	s_addc_u32 s31, 0, s33
	s_add_u32 s33, s0, s1
	s_cselect_b64 s[0:1], -1, 0
	s_cmp_lg_u64 s[0:1], 0
	s_addc_u32 s30, s30, s31
	s_mul_i32 s0, s28, s30
	s_mul_hi_u32 s1, s28, s33
	s_add_i32 s0, s1, s0
	s_mul_i32 s29, s29, s33
	s_add_i32 s0, s0, s29
	s_mul_i32 s28, s28, s33
	s_mul_hi_u32 s29, s30, s28
	s_mul_i32 s31, s30, s28
	s_mul_i32 s35, s33, s0
	s_mul_hi_u32 s28, s33, s28
	s_mul_hi_u32 s34, s33, s0
	s_add_u32 s28, s28, s35
	s_addc_u32 s34, 0, s34
	s_add_u32 s28, s28, s31
	s_mul_hi_u32 s1, s30, s0
	s_addc_u32 s28, s34, s29
	s_addc_u32 s1, s1, 0
	s_mul_i32 s0, s30, s0
	s_add_u32 s0, s28, s0
	s_addc_u32 s28, 0, s1
	s_add_u32 s29, s33, s0
	s_cselect_b64 s[0:1], -1, 0
	s_cmp_lg_u64 s[0:1], 0
	s_addc_u32 s28, s30, s28
	v_mad_u64_u32 v[2:3], s[0:1], v0, s28, 0
	v_mul_hi_u32 v4, v0, s29
	v_add_co_u32_e32 v6, vcc, v4, v2
	v_addc_co_u32_e32 v7, vcc, 0, v3, vcc
	v_mad_u64_u32 v[2:3], s[0:1], v1, s29, 0
	v_mad_u64_u32 v[4:5], s[0:1], v1, s28, 0
	v_add_co_u32_e32 v2, vcc, v6, v2
	v_addc_co_u32_e32 v2, vcc, v7, v3, vcc
	v_addc_co_u32_e32 v3, vcc, 0, v5, vcc
	v_add_co_u32_e32 v4, vcc, v2, v4
	v_addc_co_u32_e32 v5, vcc, 0, v3, vcc
	v_mul_lo_u32 v6, s23, v4
	v_mul_lo_u32 v7, s22, v5
	v_mad_u64_u32 v[2:3], s[0:1], s22, v4, 0
	v_add3_u32 v3, v3, v7, v6
	v_sub_u32_e32 v6, v1, v3
	v_mov_b32_e32 v7, s23
	v_sub_co_u32_e32 v2, vcc, v0, v2
	v_subb_co_u32_e64 v6, s[0:1], v6, v7, vcc
	v_subrev_co_u32_e64 v7, s[0:1], s22, v2
	v_subbrev_co_u32_e64 v6, s[0:1], 0, v6, s[0:1]
	v_cmp_le_u32_e64 s[0:1], s23, v6
	v_cndmask_b32_e64 v8, 0, -1, s[0:1]
	v_cmp_le_u32_e64 s[0:1], s22, v7
	v_cndmask_b32_e64 v7, 0, -1, s[0:1]
	v_cmp_eq_u32_e64 s[0:1], s23, v6
	v_cndmask_b32_e64 v6, v8, v7, s[0:1]
	v_add_co_u32_e64 v7, s[0:1], 2, v4
	v_addc_co_u32_e64 v8, s[0:1], 0, v5, s[0:1]
	v_add_co_u32_e64 v9, s[0:1], 1, v4
	v_addc_co_u32_e64 v10, s[0:1], 0, v5, s[0:1]
	v_subb_co_u32_e32 v3, vcc, v1, v3, vcc
	v_cmp_ne_u32_e64 s[0:1], 0, v6
	v_cmp_le_u32_e32 vcc, s23, v3
	v_cndmask_b32_e64 v6, v10, v8, s[0:1]
	v_cndmask_b32_e64 v8, 0, -1, vcc
	v_cmp_le_u32_e32 vcc, s22, v2
	v_cndmask_b32_e64 v2, 0, -1, vcc
	v_cmp_eq_u32_e32 vcc, s23, v3
	v_cndmask_b32_e32 v2, v8, v2, vcc
	v_cmp_ne_u32_e32 vcc, 0, v2
	v_cndmask_b32_e64 v2, v9, v7, s[0:1]
	v_cndmask_b32_e32 v3, v5, v6, vcc
	v_cndmask_b32_e32 v2, v4, v2, vcc
.LBB16_3:
	s_andn2_saveexec_b64 s[0:1], s[2:3]
	s_cbranch_execz .LBB16_5
; %bb.4:
	v_cvt_f32_u32_e32 v2, s22
	s_sub_i32 s2, 0, s22
	v_rcp_iflag_f32_e32 v2, v2
	v_mul_f32_e32 v2, 0x4f7ffffe, v2
	v_cvt_u32_f32_e32 v2, v2
	v_mul_lo_u32 v3, s2, v2
	v_mul_hi_u32 v3, v2, v3
	v_add_u32_e32 v2, v2, v3
	v_mul_hi_u32 v2, v0, v2
	v_mul_lo_u32 v3, v2, s22
	v_add_u32_e32 v4, 1, v2
	v_sub_u32_e32 v3, v0, v3
	v_subrev_u32_e32 v5, s22, v3
	v_cmp_le_u32_e32 vcc, s22, v3
	v_cndmask_b32_e32 v3, v3, v5, vcc
	v_cndmask_b32_e32 v2, v2, v4, vcc
	v_add_u32_e32 v4, 1, v2
	v_cmp_le_u32_e32 vcc, s22, v3
	v_cndmask_b32_e32 v2, v2, v4, vcc
	v_mov_b32_e32 v3, 0
.LBB16_5:
	s_or_b64 exec, exec, s[0:1]
	v_or_b32_e32 v5, s25, v3
	v_mov_b32_e32 v4, 0
	v_cmp_ne_u64_e32 vcc, 0, v[4:5]
                                        ; implicit-def: $vgpr4_vgpr5
	s_and_saveexec_b64 s[0:1], vcc
	s_xor_b64 s[2:3], exec, s[0:1]
	s_cbranch_execz .LBB16_7
; %bb.6:
	v_cvt_f32_u32_e32 v4, s24
	v_cvt_f32_u32_e32 v5, s25
	s_sub_u32 s28, 0, s24
	s_subb_u32 s29, 0, s25
	v_madmk_f32 v4, v5, 0x4f800000, v4
	v_rcp_f32_e32 v4, v4
	v_mul_f32_e32 v4, 0x5f7ffffc, v4
	v_mul_f32_e32 v5, 0x2f800000, v4
	v_trunc_f32_e32 v5, v5
	v_madmk_f32 v4, v5, 0xcf800000, v4
	v_cvt_u32_f32_e32 v5, v5
	v_cvt_u32_f32_e32 v4, v4
	v_readfirstlane_b32 s30, v5
	v_readfirstlane_b32 s0, v4
	s_mul_i32 s1, s28, s30
	s_mul_hi_u32 s33, s28, s0
	s_mul_i32 s31, s29, s0
	s_add_i32 s1, s33, s1
	s_mul_i32 s34, s28, s0
	s_add_i32 s1, s1, s31
	s_mul_i32 s33, s0, s1
	s_mul_hi_u32 s35, s0, s34
	s_mul_hi_u32 s31, s0, s1
	s_add_u32 s33, s35, s33
	s_addc_u32 s31, 0, s31
	s_mul_hi_u32 s36, s30, s34
	s_mul_i32 s34, s30, s34
	s_add_u32 s33, s33, s34
	s_mul_hi_u32 s35, s30, s1
	s_addc_u32 s31, s31, s36
	s_addc_u32 s33, s35, 0
	s_mul_i32 s1, s30, s1
	s_add_u32 s1, s31, s1
	s_addc_u32 s31, 0, s33
	s_add_u32 s33, s0, s1
	s_cselect_b64 s[0:1], -1, 0
	s_cmp_lg_u64 s[0:1], 0
	s_addc_u32 s30, s30, s31
	s_mul_i32 s0, s28, s30
	s_mul_hi_u32 s1, s28, s33
	s_add_i32 s0, s1, s0
	s_mul_i32 s29, s29, s33
	s_add_i32 s0, s0, s29
	s_mul_i32 s28, s28, s33
	s_mul_hi_u32 s29, s30, s28
	s_mul_i32 s31, s30, s28
	s_mul_i32 s35, s33, s0
	s_mul_hi_u32 s28, s33, s28
	s_mul_hi_u32 s34, s33, s0
	s_add_u32 s28, s28, s35
	s_addc_u32 s34, 0, s34
	s_add_u32 s28, s28, s31
	s_mul_hi_u32 s1, s30, s0
	s_addc_u32 s28, s34, s29
	s_addc_u32 s1, s1, 0
	s_mul_i32 s0, s30, s0
	s_add_u32 s0, s28, s0
	s_addc_u32 s28, 0, s1
	s_add_u32 s29, s33, s0
	s_cselect_b64 s[0:1], -1, 0
	s_cmp_lg_u64 s[0:1], 0
	s_addc_u32 s28, s30, s28
	v_mad_u64_u32 v[4:5], s[0:1], v2, s28, 0
	v_mul_hi_u32 v6, v2, s29
	v_add_co_u32_e32 v8, vcc, v6, v4
	v_addc_co_u32_e32 v9, vcc, 0, v5, vcc
	v_mad_u64_u32 v[4:5], s[0:1], v3, s29, 0
	v_mad_u64_u32 v[6:7], s[0:1], v3, s28, 0
	v_add_co_u32_e32 v4, vcc, v8, v4
	v_addc_co_u32_e32 v4, vcc, v9, v5, vcc
	v_addc_co_u32_e32 v5, vcc, 0, v7, vcc
	v_add_co_u32_e32 v6, vcc, v4, v6
	v_addc_co_u32_e32 v7, vcc, 0, v5, vcc
	v_mul_lo_u32 v8, s25, v6
	v_mul_lo_u32 v9, s24, v7
	v_mad_u64_u32 v[4:5], s[0:1], s24, v6, 0
	v_add3_u32 v5, v5, v9, v8
	v_sub_u32_e32 v8, v3, v5
	v_mov_b32_e32 v9, s25
	v_sub_co_u32_e32 v2, vcc, v2, v4
	v_subb_co_u32_e64 v4, s[0:1], v8, v9, vcc
	v_subrev_co_u32_e64 v8, s[0:1], s24, v2
	v_subbrev_co_u32_e64 v4, s[0:1], 0, v4, s[0:1]
	v_cmp_le_u32_e64 s[0:1], s25, v4
	v_cndmask_b32_e64 v9, 0, -1, s[0:1]
	v_cmp_le_u32_e64 s[0:1], s24, v8
	v_cndmask_b32_e64 v8, 0, -1, s[0:1]
	v_cmp_eq_u32_e64 s[0:1], s25, v4
	v_cndmask_b32_e64 v4, v9, v8, s[0:1]
	v_add_co_u32_e64 v8, s[0:1], 2, v6
	v_subb_co_u32_e32 v3, vcc, v3, v5, vcc
	v_addc_co_u32_e64 v9, s[0:1], 0, v7, s[0:1]
	v_cmp_le_u32_e32 vcc, s25, v3
	v_add_co_u32_e64 v10, s[0:1], 1, v6
	v_cndmask_b32_e64 v5, 0, -1, vcc
	v_cmp_le_u32_e32 vcc, s24, v2
	v_addc_co_u32_e64 v11, s[0:1], 0, v7, s[0:1]
	v_cndmask_b32_e64 v2, 0, -1, vcc
	v_cmp_eq_u32_e32 vcc, s25, v3
	v_cmp_ne_u32_e64 s[0:1], 0, v4
	v_cndmask_b32_e32 v2, v5, v2, vcc
	v_cndmask_b32_e64 v4, v11, v9, s[0:1]
	v_cmp_ne_u32_e32 vcc, 0, v2
	v_cndmask_b32_e64 v2, v10, v8, s[0:1]
	v_cndmask_b32_e32 v5, v7, v4, vcc
	v_cndmask_b32_e32 v4, v6, v2, vcc
                                        ; implicit-def: $vgpr2_vgpr3
.LBB16_7:
	s_andn2_saveexec_b64 s[0:1], s[2:3]
	s_cbranch_execz .LBB16_9
; %bb.8:
	v_cvt_f32_u32_e32 v3, s24
	s_sub_i32 s2, 0, s24
	v_rcp_iflag_f32_e32 v3, v3
	v_mul_f32_e32 v3, 0x4f7ffffe, v3
	v_cvt_u32_f32_e32 v3, v3
	v_mul_lo_u32 v4, s2, v3
	v_mul_hi_u32 v4, v3, v4
	v_add_u32_e32 v3, v3, v4
	v_mul_hi_u32 v3, v2, v3
	v_mul_lo_u32 v4, v3, s24
	v_add_u32_e32 v5, 1, v3
	v_sub_u32_e32 v2, v2, v4
	v_subrev_u32_e32 v4, s24, v2
	v_cmp_le_u32_e32 vcc, s24, v2
	v_cndmask_b32_e32 v2, v2, v4, vcc
	v_cndmask_b32_e32 v3, v3, v5, vcc
	v_add_u32_e32 v4, 1, v3
	v_cmp_le_u32_e32 vcc, s24, v2
	v_cndmask_b32_e32 v4, v3, v4, vcc
	v_mov_b32_e32 v5, 0
.LBB16_9:
	s_or_b64 exec, exec, s[0:1]
	v_or_b32_e32 v3, s21, v5
	v_mov_b32_e32 v2, 0
	v_cmp_ne_u64_e32 vcc, 0, v[2:3]
                                        ; implicit-def: $vgpr2_vgpr3
	s_and_saveexec_b64 s[0:1], vcc
	s_xor_b64 s[2:3], exec, s[0:1]
	s_cbranch_execz .LBB16_11
; %bb.10:
	v_cvt_f32_u32_e32 v2, s20
	v_cvt_f32_u32_e32 v3, s21
	s_sub_u32 s28, 0, s20
	s_subb_u32 s29, 0, s21
	v_madmk_f32 v2, v3, 0x4f800000, v2
	v_rcp_f32_e32 v2, v2
	v_mul_f32_e32 v2, 0x5f7ffffc, v2
	v_mul_f32_e32 v3, 0x2f800000, v2
	v_trunc_f32_e32 v3, v3
	v_madmk_f32 v2, v3, 0xcf800000, v2
	v_cvt_u32_f32_e32 v3, v3
	v_cvt_u32_f32_e32 v2, v2
	v_readfirstlane_b32 s30, v3
	v_readfirstlane_b32 s0, v2
	s_mul_i32 s1, s28, s30
	s_mul_hi_u32 s33, s28, s0
	s_mul_i32 s31, s29, s0
	s_add_i32 s1, s33, s1
	s_mul_i32 s34, s28, s0
	s_add_i32 s1, s1, s31
	s_mul_i32 s33, s0, s1
	s_mul_hi_u32 s35, s0, s34
	s_mul_hi_u32 s31, s0, s1
	s_add_u32 s33, s35, s33
	s_addc_u32 s31, 0, s31
	s_mul_hi_u32 s36, s30, s34
	s_mul_i32 s34, s30, s34
	s_add_u32 s33, s33, s34
	s_mul_hi_u32 s35, s30, s1
	s_addc_u32 s31, s31, s36
	s_addc_u32 s33, s35, 0
	s_mul_i32 s1, s30, s1
	s_add_u32 s1, s31, s1
	s_addc_u32 s31, 0, s33
	s_add_u32 s33, s0, s1
	s_cselect_b64 s[0:1], -1, 0
	s_cmp_lg_u64 s[0:1], 0
	s_addc_u32 s30, s30, s31
	s_mul_i32 s0, s28, s30
	s_mul_hi_u32 s1, s28, s33
	s_add_i32 s0, s1, s0
	s_mul_i32 s29, s29, s33
	s_add_i32 s0, s0, s29
	s_mul_i32 s28, s28, s33
	s_mul_hi_u32 s29, s30, s28
	s_mul_i32 s31, s30, s28
	s_mul_i32 s35, s33, s0
	s_mul_hi_u32 s28, s33, s28
	s_mul_hi_u32 s34, s33, s0
	s_add_u32 s28, s28, s35
	s_addc_u32 s34, 0, s34
	s_add_u32 s28, s28, s31
	s_mul_hi_u32 s1, s30, s0
	s_addc_u32 s28, s34, s29
	s_addc_u32 s1, s1, 0
	s_mul_i32 s0, s30, s0
	s_add_u32 s0, s28, s0
	s_addc_u32 s28, 0, s1
	s_add_u32 s29, s33, s0
	s_cselect_b64 s[0:1], -1, 0
	s_cmp_lg_u64 s[0:1], 0
	s_addc_u32 s28, s30, s28
	v_mad_u64_u32 v[2:3], s[0:1], v4, s28, 0
	v_mul_hi_u32 v6, v4, s29
	v_add_co_u32_e32 v8, vcc, v6, v2
	v_addc_co_u32_e32 v9, vcc, 0, v3, vcc
	v_mad_u64_u32 v[2:3], s[0:1], v5, s29, 0
	v_mad_u64_u32 v[6:7], s[0:1], v5, s28, 0
	v_add_co_u32_e32 v2, vcc, v8, v2
	v_addc_co_u32_e32 v2, vcc, v9, v3, vcc
	v_addc_co_u32_e32 v3, vcc, 0, v7, vcc
	v_add_co_u32_e32 v2, vcc, v2, v6
	v_addc_co_u32_e32 v3, vcc, 0, v3, vcc
	v_mul_lo_u32 v6, s21, v2
	v_mul_lo_u32 v7, s20, v3
	v_mad_u64_u32 v[2:3], s[0:1], s20, v2, 0
	v_add3_u32 v3, v3, v7, v6
	v_sub_u32_e32 v6, v5, v3
	v_mov_b32_e32 v7, s21
	v_sub_co_u32_e32 v2, vcc, v4, v2
	v_subb_co_u32_e64 v4, s[0:1], v6, v7, vcc
	v_subrev_co_u32_e64 v6, s[0:1], s20, v2
	v_subbrev_co_u32_e64 v4, s[0:1], 0, v4, s[0:1]
	v_cmp_le_u32_e64 s[0:1], s21, v4
	v_subb_co_u32_e32 v3, vcc, v5, v3, vcc
	v_cndmask_b32_e64 v7, 0, -1, s[0:1]
	v_cmp_le_u32_e64 s[0:1], s20, v6
	v_cmp_le_u32_e32 vcc, s21, v3
	v_cndmask_b32_e64 v8, 0, -1, s[0:1]
	v_cmp_eq_u32_e64 s[0:1], s21, v4
	v_cndmask_b32_e64 v5, 0, -1, vcc
	v_cmp_le_u32_e32 vcc, s20, v2
	v_cndmask_b32_e64 v4, v7, v8, s[0:1]
	v_cndmask_b32_e64 v8, 0, -1, vcc
	v_cmp_eq_u32_e32 vcc, s21, v3
	v_subrev_co_u32_e64 v7, s[0:1], s20, v6
	v_cndmask_b32_e32 v3, v5, v8, vcc
	v_cmp_ne_u32_e32 vcc, 0, v4
	v_cndmask_b32_e32 v4, v6, v7, vcc
	v_cmp_ne_u32_e32 vcc, 0, v3
	v_cndmask_b32_e32 v2, v2, v4, vcc
                                        ; implicit-def: $vgpr4_vgpr5
.LBB16_11:
	s_andn2_saveexec_b64 s[0:1], s[2:3]
	s_cbranch_execz .LBB16_13
; %bb.12:
	v_cvt_f32_u32_e32 v2, s20
	s_sub_i32 s2, 0, s20
	v_rcp_iflag_f32_e32 v2, v2
	v_mul_f32_e32 v2, 0x4f7ffffe, v2
	v_cvt_u32_f32_e32 v2, v2
	v_mul_lo_u32 v3, s2, v2
	v_mul_hi_u32 v3, v2, v3
	v_add_u32_e32 v2, v2, v3
	v_mul_hi_u32 v2, v4, v2
	v_mul_lo_u32 v2, v2, s20
	v_sub_u32_e32 v2, v4, v2
	v_subrev_u32_e32 v3, s20, v2
	v_cmp_le_u32_e32 vcc, s20, v2
	v_cndmask_b32_e32 v2, v2, v3, vcc
	v_subrev_u32_e32 v3, s20, v2
	v_cmp_le_u32_e32 vcc, s20, v2
	v_cndmask_b32_e32 v2, v2, v3, vcc
.LBB16_13:
	s_or_b64 exec, exec, s[0:1]
	v_or_b32_e32 v4, s25, v1
	v_mov_b32_e32 v3, 0
	v_cmp_ne_u64_e32 vcc, 0, v[3:4]
                                        ; implicit-def: $vgpr3_vgpr4
	s_and_saveexec_b64 s[0:1], vcc
	s_xor_b64 s[2:3], exec, s[0:1]
	s_cbranch_execz .LBB16_15
; %bb.14:
	v_cvt_f32_u32_e32 v3, s24
	v_cvt_f32_u32_e32 v4, s25
	s_sub_u32 s20, 0, s24
	s_subb_u32 s21, 0, s25
	v_madmk_f32 v3, v4, 0x4f800000, v3
	v_rcp_f32_e32 v3, v3
	v_mul_f32_e32 v3, 0x5f7ffffc, v3
	v_mul_f32_e32 v4, 0x2f800000, v3
	v_trunc_f32_e32 v4, v4
	v_madmk_f32 v3, v4, 0xcf800000, v3
	v_cvt_u32_f32_e32 v4, v4
	v_cvt_u32_f32_e32 v3, v3
	v_readfirstlane_b32 s28, v4
	v_readfirstlane_b32 s0, v3
	s_mul_i32 s1, s20, s28
	s_mul_hi_u32 s30, s20, s0
	s_mul_i32 s29, s21, s0
	s_add_i32 s1, s30, s1
	s_mul_i32 s31, s20, s0
	s_add_i32 s1, s1, s29
	s_mul_i32 s30, s0, s1
	s_mul_hi_u32 s33, s0, s31
	s_mul_hi_u32 s29, s0, s1
	s_add_u32 s30, s33, s30
	s_addc_u32 s29, 0, s29
	s_mul_hi_u32 s34, s28, s31
	s_mul_i32 s31, s28, s31
	s_add_u32 s30, s30, s31
	s_mul_hi_u32 s33, s28, s1
	s_addc_u32 s29, s29, s34
	s_addc_u32 s30, s33, 0
	s_mul_i32 s1, s28, s1
	s_add_u32 s1, s29, s1
	s_addc_u32 s29, 0, s30
	s_add_u32 s30, s0, s1
	s_cselect_b64 s[0:1], -1, 0
	s_cmp_lg_u64 s[0:1], 0
	s_addc_u32 s28, s28, s29
	s_mul_i32 s0, s20, s28
	s_mul_hi_u32 s1, s20, s30
	s_add_i32 s0, s1, s0
	s_mul_i32 s21, s21, s30
	s_add_i32 s0, s0, s21
	s_mul_i32 s20, s20, s30
	s_mul_hi_u32 s21, s28, s20
	s_mul_i32 s29, s28, s20
	s_mul_i32 s33, s30, s0
	s_mul_hi_u32 s20, s30, s20
	s_mul_hi_u32 s31, s30, s0
	s_add_u32 s20, s20, s33
	s_addc_u32 s31, 0, s31
	s_add_u32 s20, s20, s29
	s_mul_hi_u32 s1, s28, s0
	s_addc_u32 s20, s31, s21
	s_addc_u32 s1, s1, 0
	s_mul_i32 s0, s28, s0
	s_add_u32 s0, s20, s0
	s_addc_u32 s20, 0, s1
	s_add_u32 s21, s30, s0
	s_cselect_b64 s[0:1], -1, 0
	s_cmp_lg_u64 s[0:1], 0
	s_addc_u32 s20, s28, s20
	v_mad_u64_u32 v[3:4], s[0:1], v0, s20, 0
	v_mul_hi_u32 v5, v0, s21
	v_add_co_u32_e32 v7, vcc, v5, v3
	v_addc_co_u32_e32 v8, vcc, 0, v4, vcc
	v_mad_u64_u32 v[3:4], s[0:1], v1, s21, 0
	v_mad_u64_u32 v[5:6], s[0:1], v1, s20, 0
	v_add_co_u32_e32 v3, vcc, v7, v3
	v_addc_co_u32_e32 v3, vcc, v8, v4, vcc
	v_addc_co_u32_e32 v4, vcc, 0, v6, vcc
	v_add_co_u32_e32 v5, vcc, v3, v5
	v_addc_co_u32_e32 v6, vcc, 0, v4, vcc
	v_mul_lo_u32 v7, s25, v5
	v_mul_lo_u32 v8, s24, v6
	v_mad_u64_u32 v[3:4], s[0:1], s24, v5, 0
	v_add3_u32 v4, v4, v8, v7
	v_sub_u32_e32 v7, v1, v4
	v_mov_b32_e32 v8, s25
	v_sub_co_u32_e32 v3, vcc, v0, v3
	v_subb_co_u32_e64 v7, s[0:1], v7, v8, vcc
	v_subrev_co_u32_e64 v8, s[0:1], s24, v3
	v_subbrev_co_u32_e64 v7, s[0:1], 0, v7, s[0:1]
	v_cmp_le_u32_e64 s[0:1], s25, v7
	v_cndmask_b32_e64 v9, 0, -1, s[0:1]
	v_cmp_le_u32_e64 s[0:1], s24, v8
	v_cndmask_b32_e64 v8, 0, -1, s[0:1]
	v_cmp_eq_u32_e64 s[0:1], s25, v7
	v_cndmask_b32_e64 v7, v9, v8, s[0:1]
	v_add_co_u32_e64 v8, s[0:1], 2, v5
	v_addc_co_u32_e64 v9, s[0:1], 0, v6, s[0:1]
	v_add_co_u32_e64 v10, s[0:1], 1, v5
	v_addc_co_u32_e64 v11, s[0:1], 0, v6, s[0:1]
	v_subb_co_u32_e32 v4, vcc, v1, v4, vcc
	v_cmp_ne_u32_e64 s[0:1], 0, v7
	v_cmp_le_u32_e32 vcc, s25, v4
	v_cndmask_b32_e64 v7, v11, v9, s[0:1]
	v_cndmask_b32_e64 v9, 0, -1, vcc
	v_cmp_le_u32_e32 vcc, s24, v3
	v_cndmask_b32_e64 v3, 0, -1, vcc
	v_cmp_eq_u32_e32 vcc, s25, v4
	v_cndmask_b32_e32 v3, v9, v3, vcc
	v_cmp_ne_u32_e32 vcc, 0, v3
	v_cndmask_b32_e64 v3, v10, v8, s[0:1]
	v_cndmask_b32_e32 v4, v6, v7, vcc
	v_cndmask_b32_e32 v3, v5, v3, vcc
.LBB16_15:
	s_andn2_saveexec_b64 s[0:1], s[2:3]
	s_cbranch_execz .LBB16_17
; %bb.16:
	v_cvt_f32_u32_e32 v3, s24
	s_sub_i32 s2, 0, s24
	v_rcp_iflag_f32_e32 v3, v3
	v_mul_f32_e32 v3, 0x4f7ffffe, v3
	v_cvt_u32_f32_e32 v3, v3
	v_mul_lo_u32 v4, s2, v3
	v_mul_hi_u32 v4, v3, v4
	v_add_u32_e32 v3, v3, v4
	v_mul_hi_u32 v3, v0, v3
	v_mul_lo_u32 v4, v3, s24
	v_add_u32_e32 v5, 1, v3
	v_sub_u32_e32 v4, v0, v4
	v_subrev_u32_e32 v6, s24, v4
	v_cmp_le_u32_e32 vcc, s24, v4
	v_cndmask_b32_e32 v4, v4, v6, vcc
	v_cndmask_b32_e32 v3, v3, v5, vcc
	v_add_u32_e32 v5, 1, v3
	v_cmp_le_u32_e32 vcc, s24, v4
	v_cndmask_b32_e32 v3, v3, v5, vcc
	v_mov_b32_e32 v4, 0
.LBB16_17:
	s_or_b64 exec, exec, s[0:1]
	v_or_b32_e32 v6, s23, v4
	v_mov_b32_e32 v5, 0
	v_cmp_ne_u64_e32 vcc, 0, v[5:6]
                                        ; implicit-def: $vgpr5_vgpr6
	s_and_saveexec_b64 s[0:1], vcc
	s_xor_b64 s[2:3], exec, s[0:1]
	s_cbranch_execnz .LBB16_20
; %bb.18:
	s_andn2_saveexec_b64 s[0:1], s[2:3]
	s_cbranch_execnz .LBB16_21
.LBB16_19:
	s_or_b64 exec, exec, s[0:1]
	s_cmp_eq_u64 s[10:11], 0
	s_cbranch_scc0 .LBB16_22
	s_branch .LBB16_44
.LBB16_20:
	v_cvt_f32_u32_e32 v5, s22
	v_cvt_f32_u32_e32 v6, s23
	s_sub_u32 s20, 0, s22
	s_subb_u32 s21, 0, s23
	v_madmk_f32 v5, v6, 0x4f800000, v5
	v_rcp_f32_e32 v5, v5
	v_mul_f32_e32 v5, 0x5f7ffffc, v5
	v_mul_f32_e32 v6, 0x2f800000, v5
	v_trunc_f32_e32 v6, v6
	v_madmk_f32 v5, v6, 0xcf800000, v5
	v_cvt_u32_f32_e32 v6, v6
	v_cvt_u32_f32_e32 v5, v5
	v_readfirstlane_b32 s28, v6
	v_readfirstlane_b32 s0, v5
	s_mul_i32 s1, s20, s28
	s_mul_hi_u32 s30, s20, s0
	s_mul_i32 s29, s21, s0
	s_add_i32 s1, s30, s1
	s_mul_i32 s31, s20, s0
	s_add_i32 s1, s1, s29
	s_mul_i32 s30, s0, s1
	s_mul_hi_u32 s33, s0, s31
	s_mul_hi_u32 s29, s0, s1
	s_add_u32 s30, s33, s30
	s_addc_u32 s29, 0, s29
	s_mul_hi_u32 s34, s28, s31
	s_mul_i32 s31, s28, s31
	s_add_u32 s30, s30, s31
	s_mul_hi_u32 s33, s28, s1
	s_addc_u32 s29, s29, s34
	s_addc_u32 s30, s33, 0
	s_mul_i32 s1, s28, s1
	s_add_u32 s1, s29, s1
	s_addc_u32 s29, 0, s30
	s_add_u32 s30, s0, s1
	s_cselect_b64 s[0:1], -1, 0
	s_cmp_lg_u64 s[0:1], 0
	s_addc_u32 s28, s28, s29
	s_mul_i32 s0, s20, s28
	s_mul_hi_u32 s1, s20, s30
	s_add_i32 s0, s1, s0
	s_mul_i32 s21, s21, s30
	s_add_i32 s0, s0, s21
	s_mul_i32 s20, s20, s30
	s_mul_hi_u32 s21, s28, s20
	s_mul_i32 s29, s28, s20
	s_mul_i32 s33, s30, s0
	s_mul_hi_u32 s20, s30, s20
	s_mul_hi_u32 s31, s30, s0
	s_add_u32 s20, s20, s33
	s_addc_u32 s31, 0, s31
	s_add_u32 s20, s20, s29
	s_mul_hi_u32 s1, s28, s0
	s_addc_u32 s20, s31, s21
	s_addc_u32 s1, s1, 0
	s_mul_i32 s0, s28, s0
	s_add_u32 s0, s20, s0
	s_addc_u32 s20, 0, s1
	s_add_u32 s21, s30, s0
	s_cselect_b64 s[0:1], -1, 0
	s_cmp_lg_u64 s[0:1], 0
	s_addc_u32 s20, s28, s20
	v_mad_u64_u32 v[5:6], s[0:1], v3, s20, 0
	v_mul_hi_u32 v7, v3, s21
	v_add_co_u32_e32 v9, vcc, v7, v5
	v_addc_co_u32_e32 v10, vcc, 0, v6, vcc
	v_mad_u64_u32 v[5:6], s[0:1], v4, s21, 0
	v_mad_u64_u32 v[7:8], s[0:1], v4, s20, 0
	v_add_co_u32_e32 v5, vcc, v9, v5
	v_addc_co_u32_e32 v5, vcc, v10, v6, vcc
	v_addc_co_u32_e32 v6, vcc, 0, v8, vcc
	v_add_co_u32_e32 v5, vcc, v5, v7
	v_addc_co_u32_e32 v6, vcc, 0, v6, vcc
	v_mul_lo_u32 v7, s23, v5
	v_mul_lo_u32 v8, s22, v6
	v_mad_u64_u32 v[5:6], s[0:1], s22, v5, 0
	v_add3_u32 v6, v6, v8, v7
	v_sub_u32_e32 v7, v4, v6
	v_mov_b32_e32 v8, s23
	v_sub_co_u32_e32 v5, vcc, v3, v5
	v_subb_co_u32_e64 v7, s[0:1], v7, v8, vcc
	v_subrev_co_u32_e64 v8, s[0:1], s22, v5
	v_subbrev_co_u32_e64 v7, s[0:1], 0, v7, s[0:1]
	v_cmp_le_u32_e64 s[0:1], s23, v7
	v_subb_co_u32_e32 v4, vcc, v4, v6, vcc
	v_cndmask_b32_e64 v9, 0, -1, s[0:1]
	v_cmp_le_u32_e64 s[0:1], s22, v8
	v_cmp_le_u32_e32 vcc, s23, v4
	v_cndmask_b32_e64 v10, 0, -1, s[0:1]
	v_cmp_eq_u32_e64 s[0:1], s23, v7
	v_cndmask_b32_e64 v6, 0, -1, vcc
	v_cmp_le_u32_e32 vcc, s22, v5
	v_cndmask_b32_e64 v7, v9, v10, s[0:1]
	v_cndmask_b32_e64 v10, 0, -1, vcc
	v_cmp_eq_u32_e32 vcc, s23, v4
	v_subrev_co_u32_e64 v9, s[0:1], s22, v8
	v_cndmask_b32_e32 v4, v6, v10, vcc
	v_cmp_ne_u32_e32 vcc, 0, v7
	v_cndmask_b32_e32 v6, v8, v9, vcc
	v_cmp_ne_u32_e32 vcc, 0, v4
	v_cndmask_b32_e32 v5, v5, v6, vcc
	s_andn2_saveexec_b64 s[0:1], s[2:3]
	s_cbranch_execz .LBB16_19
.LBB16_21:
	v_cvt_f32_u32_e32 v4, s22
	s_sub_i32 s2, 0, s22
	v_rcp_iflag_f32_e32 v4, v4
	v_mul_f32_e32 v4, 0x4f7ffffe, v4
	v_cvt_u32_f32_e32 v4, v4
	v_mul_lo_u32 v5, s2, v4
	v_mul_hi_u32 v5, v4, v5
	v_add_u32_e32 v4, v4, v5
	v_mul_hi_u32 v4, v3, v4
	v_mul_lo_u32 v4, v4, s22
	v_sub_u32_e32 v4, v3, v4
	v_subrev_u32_e32 v5, s22, v4
	v_cmp_le_u32_e32 vcc, s22, v4
	v_cndmask_b32_e32 v4, v4, v5, vcc
	v_subrev_u32_e32 v5, s22, v4
	v_cmp_le_u32_e32 vcc, s22, v4
	v_cndmask_b32_e32 v5, v4, v5, vcc
	s_or_b64 exec, exec, s[0:1]
	s_cmp_eq_u64 s[10:11], 0
	s_cbranch_scc1 .LBB16_44
.LBB16_22:
	s_mul_i32 s0, s6, s25
	s_mul_hi_u32 s1, s6, s24
	s_add_i32 s0, s1, s0
	s_mul_i32 s7, s7, s24
	s_add_i32 s22, s0, s7
	v_or_b32_e32 v7, s22, v1
	v_mov_b32_e32 v6, 0
	v_cmp_ne_u64_e32 vcc, 0, v[6:7]
	s_mul_i32 s23, s6, s24
                                        ; implicit-def: $vgpr8_vgpr9
	s_and_saveexec_b64 s[0:1], vcc
	s_xor_b64 s[2:3], exec, s[0:1]
	s_cbranch_execz .LBB16_24
; %bb.23:
	s_ashr_i32 s6, s22, 31
	s_add_u32 s0, s23, s6
	s_mov_b32 s7, s6
	s_addc_u32 s1, s22, s6
	s_xor_b64 s[20:21], s[0:1], s[6:7]
	v_cvt_f32_u32_e32 v4, s20
	v_cvt_f32_u32_e32 v6, s21
	s_sub_u32 s7, 0, s20
	s_subb_u32 s25, 0, s21
	v_madmk_f32 v4, v6, 0x4f800000, v4
	v_rcp_f32_e32 v4, v4
	v_mul_f32_e32 v4, 0x5f7ffffc, v4
	v_mul_f32_e32 v6, 0x2f800000, v4
	v_trunc_f32_e32 v6, v6
	v_madmk_f32 v4, v6, 0xcf800000, v4
	v_cvt_u32_f32_e32 v6, v6
	v_cvt_u32_f32_e32 v4, v4
	v_readfirstlane_b32 s28, v6
	v_readfirstlane_b32 s0, v4
	s_mul_i32 s1, s7, s28
	s_mul_hi_u32 s30, s7, s0
	s_mul_i32 s29, s25, s0
	s_add_i32 s1, s30, s1
	s_add_i32 s1, s1, s29
	s_mul_i32 s31, s7, s0
	s_mul_i32 s30, s0, s1
	s_mul_hi_u32 s33, s0, s31
	s_mul_hi_u32 s29, s0, s1
	s_add_u32 s30, s33, s30
	s_addc_u32 s29, 0, s29
	s_mul_hi_u32 s34, s28, s31
	s_mul_i32 s31, s28, s31
	s_add_u32 s30, s30, s31
	s_mul_hi_u32 s33, s28, s1
	s_addc_u32 s29, s29, s34
	s_addc_u32 s30, s33, 0
	s_mul_i32 s1, s28, s1
	s_add_u32 s1, s29, s1
	s_addc_u32 s29, 0, s30
	s_add_u32 s30, s0, s1
	s_cselect_b64 s[0:1], -1, 0
	s_cmp_lg_u64 s[0:1], 0
	s_addc_u32 s28, s28, s29
	s_mul_i32 s0, s7, s28
	s_mul_hi_u32 s1, s7, s30
	s_add_i32 s0, s1, s0
	s_mul_i32 s25, s25, s30
	s_add_i32 s0, s0, s25
	s_mul_i32 s7, s7, s30
	s_mul_hi_u32 s25, s28, s7
	s_mul_i32 s29, s28, s7
	s_mul_i32 s33, s30, s0
	s_mul_hi_u32 s7, s30, s7
	s_mul_hi_u32 s31, s30, s0
	s_add_u32 s7, s7, s33
	s_addc_u32 s31, 0, s31
	s_add_u32 s7, s7, s29
	s_mul_hi_u32 s1, s28, s0
	s_addc_u32 s7, s31, s25
	s_addc_u32 s1, s1, 0
	s_mul_i32 s0, s28, s0
	s_add_u32 s0, s7, s0
	s_addc_u32 s7, 0, s1
	s_add_u32 s25, s30, s0
	s_cselect_b64 s[0:1], -1, 0
	v_ashrrev_i32_e32 v4, 31, v1
	s_cmp_lg_u64 s[0:1], 0
	v_add_co_u32_e32 v6, vcc, v0, v4
	s_addc_u32 s7, s28, s7
	v_xor_b32_e32 v10, v6, v4
	v_mad_u64_u32 v[6:7], s[0:1], v10, s7, 0
	v_mul_hi_u32 v9, v10, s25
	v_addc_co_u32_e32 v8, vcc, v1, v4, vcc
	v_xor_b32_e32 v11, v8, v4
	v_add_co_u32_e32 v12, vcc, v9, v6
	v_addc_co_u32_e32 v13, vcc, 0, v7, vcc
	v_mad_u64_u32 v[6:7], s[0:1], v11, s25, 0
	v_mad_u64_u32 v[8:9], s[0:1], v11, s7, 0
	v_add_co_u32_e32 v6, vcc, v12, v6
	v_addc_co_u32_e32 v6, vcc, v13, v7, vcc
	v_addc_co_u32_e32 v7, vcc, 0, v9, vcc
	v_add_co_u32_e32 v8, vcc, v6, v8
	v_addc_co_u32_e32 v9, vcc, 0, v7, vcc
	v_mul_lo_u32 v12, s21, v8
	v_mul_lo_u32 v13, s20, v9
	v_mad_u64_u32 v[6:7], s[0:1], s20, v8, 0
	v_xor_b32_e32 v4, s6, v4
	v_add3_u32 v7, v7, v13, v12
	v_sub_u32_e32 v12, v11, v7
	v_mov_b32_e32 v13, s21
	v_sub_co_u32_e32 v6, vcc, v10, v6
	v_subb_co_u32_e64 v10, s[0:1], v12, v13, vcc
	v_subrev_co_u32_e64 v12, s[0:1], s20, v6
	v_subbrev_co_u32_e64 v10, s[0:1], 0, v10, s[0:1]
	v_cmp_le_u32_e64 s[0:1], s21, v10
	v_cndmask_b32_e64 v13, 0, -1, s[0:1]
	v_cmp_le_u32_e64 s[0:1], s20, v12
	v_cndmask_b32_e64 v12, 0, -1, s[0:1]
	v_cmp_eq_u32_e64 s[0:1], s21, v10
	v_cndmask_b32_e64 v10, v13, v12, s[0:1]
	v_add_co_u32_e64 v12, s[0:1], 2, v8
	v_subb_co_u32_e32 v7, vcc, v11, v7, vcc
	v_addc_co_u32_e64 v13, s[0:1], 0, v9, s[0:1]
	v_cmp_le_u32_e32 vcc, s21, v7
	v_add_co_u32_e64 v14, s[0:1], 1, v8
	v_cndmask_b32_e64 v11, 0, -1, vcc
	v_cmp_le_u32_e32 vcc, s20, v6
	v_addc_co_u32_e64 v15, s[0:1], 0, v9, s[0:1]
	v_cndmask_b32_e64 v6, 0, -1, vcc
	v_cmp_eq_u32_e32 vcc, s21, v7
	v_cmp_ne_u32_e64 s[0:1], 0, v10
	v_cndmask_b32_e32 v6, v11, v6, vcc
	v_cmp_ne_u32_e32 vcc, 0, v6
	v_cndmask_b32_e64 v7, v14, v12, s[0:1]
	v_cndmask_b32_e64 v10, v15, v13, s[0:1]
	v_cndmask_b32_e32 v7, v8, v7, vcc
	v_cndmask_b32_e32 v6, v9, v10, vcc
	v_xor_b32_e32 v7, v7, v4
	v_xor_b32_e32 v6, v6, v4
	v_sub_co_u32_e32 v8, vcc, v7, v4
	v_subb_co_u32_e32 v9, vcc, v6, v4, vcc
.LBB16_24:
	s_andn2_saveexec_b64 s[0:1], s[2:3]
	s_cbranch_execz .LBB16_26
; %bb.25:
	v_cvt_f32_u32_e32 v4, s23
	s_sub_i32 s2, 0, s23
	v_mov_b32_e32 v9, 0
	v_rcp_iflag_f32_e32 v4, v4
	v_mul_f32_e32 v4, 0x4f7ffffe, v4
	v_cvt_u32_f32_e32 v4, v4
	v_mul_lo_u32 v6, s2, v4
	v_mul_hi_u32 v6, v4, v6
	v_add_u32_e32 v4, v4, v6
	v_mul_hi_u32 v4, v0, v4
	v_mul_lo_u32 v6, v4, s23
	v_add_u32_e32 v7, 1, v4
	v_sub_u32_e32 v6, v0, v6
	v_subrev_u32_e32 v8, s23, v6
	v_cmp_le_u32_e32 vcc, s23, v6
	v_cndmask_b32_e32 v6, v6, v8, vcc
	v_cndmask_b32_e32 v4, v4, v7, vcc
	v_add_u32_e32 v7, 1, v4
	v_cmp_le_u32_e32 vcc, s23, v6
	v_cndmask_b32_e32 v8, v4, v7, vcc
.LBB16_26:
	s_or_b64 exec, exec, s[0:1]
	v_or_b32_e32 v7, s13, v9
	v_mov_b32_e32 v6, 0
	v_cmp_ne_u64_e32 vcc, 0, v[6:7]
                                        ; implicit-def: $vgpr6_vgpr7
	s_and_saveexec_b64 s[0:1], vcc
	s_xor_b64 s[2:3], exec, s[0:1]
	s_cbranch_execz .LBB16_28
; %bb.27:
	v_cvt_f32_u32_e32 v4, s12
	v_cvt_f32_u32_e32 v6, s13
	s_sub_u32 s6, 0, s12
	s_subb_u32 s7, 0, s13
	v_madmk_f32 v4, v6, 0x4f800000, v4
	v_rcp_f32_e32 v4, v4
	v_mul_f32_e32 v4, 0x5f7ffffc, v4
	v_mul_f32_e32 v6, 0x2f800000, v4
	v_trunc_f32_e32 v6, v6
	v_madmk_f32 v4, v6, 0xcf800000, v4
	v_cvt_u32_f32_e32 v6, v6
	v_cvt_u32_f32_e32 v4, v4
	v_readfirstlane_b32 s20, v6
	v_readfirstlane_b32 s0, v4
	s_mul_i32 s1, s6, s20
	s_mul_hi_u32 s25, s6, s0
	s_mul_i32 s21, s7, s0
	s_add_i32 s1, s25, s1
	s_mul_i32 s28, s6, s0
	s_add_i32 s1, s1, s21
	s_mul_i32 s25, s0, s1
	s_mul_hi_u32 s29, s0, s28
	s_mul_hi_u32 s21, s0, s1
	s_add_u32 s25, s29, s25
	s_addc_u32 s21, 0, s21
	s_mul_hi_u32 s30, s20, s28
	s_mul_i32 s28, s20, s28
	s_add_u32 s25, s25, s28
	s_mul_hi_u32 s29, s20, s1
	s_addc_u32 s21, s21, s30
	s_addc_u32 s25, s29, 0
	s_mul_i32 s1, s20, s1
	s_add_u32 s1, s21, s1
	s_addc_u32 s21, 0, s25
	s_add_u32 s25, s0, s1
	s_cselect_b64 s[0:1], -1, 0
	s_cmp_lg_u64 s[0:1], 0
	s_addc_u32 s20, s20, s21
	s_mul_i32 s0, s6, s20
	s_mul_hi_u32 s1, s6, s25
	s_add_i32 s0, s1, s0
	s_mul_i32 s7, s7, s25
	s_add_i32 s0, s0, s7
	s_mul_i32 s6, s6, s25
	s_mul_hi_u32 s7, s20, s6
	s_mul_i32 s21, s20, s6
	s_mul_i32 s29, s25, s0
	s_mul_hi_u32 s6, s25, s6
	s_mul_hi_u32 s28, s25, s0
	s_add_u32 s6, s6, s29
	s_addc_u32 s28, 0, s28
	s_add_u32 s6, s6, s21
	s_mul_hi_u32 s1, s20, s0
	s_addc_u32 s6, s28, s7
	s_addc_u32 s1, s1, 0
	s_mul_i32 s0, s20, s0
	s_add_u32 s0, s6, s0
	s_addc_u32 s6, 0, s1
	s_add_u32 s7, s25, s0
	s_cselect_b64 s[0:1], -1, 0
	s_cmp_lg_u64 s[0:1], 0
	s_addc_u32 s6, s20, s6
	v_mad_u64_u32 v[6:7], s[0:1], v8, s6, 0
	v_mul_hi_u32 v4, v8, s7
	v_mad_u64_u32 v[10:11], s[0:1], v9, s6, 0
	v_add_co_u32_e32 v4, vcc, v4, v6
	v_addc_co_u32_e32 v12, vcc, 0, v7, vcc
	v_mad_u64_u32 v[6:7], s[0:1], v9, s7, 0
	v_add_co_u32_e32 v4, vcc, v4, v6
	v_addc_co_u32_e32 v4, vcc, v12, v7, vcc
	v_addc_co_u32_e32 v6, vcc, 0, v11, vcc
	v_add_co_u32_e32 v4, vcc, v4, v10
	v_addc_co_u32_e32 v6, vcc, 0, v6, vcc
	v_mul_lo_u32 v10, s13, v4
	v_mul_lo_u32 v11, s12, v6
	v_mad_u64_u32 v[6:7], s[0:1], s12, v4, 0
	v_add3_u32 v4, v7, v11, v10
	v_sub_u32_e32 v7, v9, v4
	v_mov_b32_e32 v10, s13
	v_sub_co_u32_e32 v6, vcc, v8, v6
	v_subb_co_u32_e64 v7, s[0:1], v7, v10, vcc
	v_subrev_co_u32_e64 v8, s[0:1], s12, v6
	v_subbrev_co_u32_e64 v7, s[0:1], 0, v7, s[0:1]
	v_cmp_le_u32_e64 s[0:1], s13, v7
	v_subb_co_u32_e32 v4, vcc, v9, v4, vcc
	v_cndmask_b32_e64 v10, 0, -1, s[0:1]
	v_cmp_le_u32_e64 s[0:1], s12, v8
	v_cmp_le_u32_e32 vcc, s13, v4
	v_cndmask_b32_e64 v11, 0, -1, s[0:1]
	v_cmp_eq_u32_e64 s[0:1], s13, v7
	v_cndmask_b32_e64 v9, 0, -1, vcc
	v_cmp_le_u32_e32 vcc, s12, v6
	v_cndmask_b32_e64 v7, v10, v11, s[0:1]
	v_cndmask_b32_e64 v11, 0, -1, vcc
	v_cmp_eq_u32_e32 vcc, s13, v4
	v_subrev_co_u32_e64 v10, s[0:1], s12, v8
	v_cndmask_b32_e32 v4, v9, v11, vcc
	v_cmp_ne_u32_e32 vcc, 0, v7
	v_cndmask_b32_e32 v7, v8, v10, vcc
	v_cmp_ne_u32_e32 vcc, 0, v4
	v_cndmask_b32_e32 v6, v6, v7, vcc
                                        ; implicit-def: $vgpr8_vgpr9
.LBB16_28:
	s_andn2_saveexec_b64 s[0:1], s[2:3]
	s_cbranch_execz .LBB16_30
; %bb.29:
	v_cvt_f32_u32_e32 v4, s12
	s_sub_i32 s2, 0, s12
	v_rcp_iflag_f32_e32 v4, v4
	v_mul_f32_e32 v4, 0x4f7ffffe, v4
	v_cvt_u32_f32_e32 v4, v4
	v_mul_lo_u32 v6, s2, v4
	v_mul_hi_u32 v6, v4, v6
	v_add_u32_e32 v4, v4, v6
	v_mul_hi_u32 v4, v8, v4
	v_mul_lo_u32 v4, v4, s12
	v_sub_u32_e32 v4, v8, v4
	v_subrev_u32_e32 v6, s12, v4
	v_cmp_le_u32_e32 vcc, s12, v4
	v_cndmask_b32_e32 v4, v4, v6, vcc
	v_subrev_u32_e32 v6, s12, v4
	v_cmp_le_u32_e32 vcc, s12, v4
	v_cndmask_b32_e32 v6, v4, v6, vcc
.LBB16_30:
	s_or_b64 exec, exec, s[0:1]
	v_mul_lo_u32 v3, v3, s24
	s_mul_i32 s0, s18, s17
	s_mul_hi_u32 s1, s18, s16
	s_add_i32 s0, s1, s0
	s_mul_i32 s1, s19, s16
	s_add_i32 s30, s0, s1
	s_load_dwordx4 s[0:3], s[4:5], 0x50
	v_sub_u32_e32 v3, v0, v3
	v_cvt_f32_i32_e32 v8, v3
	v_cvt_f32_i32_e32 v4, v5
	v_add_u32_e32 v5, 1, v5
	v_add_u32_e32 v3, 1, v3
	s_waitcnt lgkmcnt(0)
	v_fma_f32 v8, s2, v8, -0.5
	v_ceil_f32_e32 v8, v8
	v_cvt_i32_f32_e32 v12, v8
	v_cvt_f32_i32_e32 v8, v2
	v_add_u32_e32 v2, 1, v2
	v_cvt_f32_i32_e32 v5, v5
	v_cvt_f32_i32_e32 v3, v3
	;; [unrolled: 1-line block ×3, first 2 shown]
	v_fma_f32 v4, s1, v4, -0.5
	v_ceil_f32_e32 v4, v4
	v_cvt_i32_f32_e32 v7, v4
	v_fma_f32 v4, s1, v5, -0.5
	v_fma_f32 v3, s2, v3, -0.5
	;; [unrolled: 1-line block ×3, first 2 shown]
	v_ceil_f32_e32 v4, v4
	v_ceil_f32_e32 v3, v3
	v_fma_f32 v8, s0, v8, -0.5
	v_ceil_f32_e32 v2, v2
	v_cvt_i32_f32_e32 v5, v4
	v_cvt_i32_f32_e32 v3, v3
	v_ceil_f32_e32 v8, v8
	v_cvt_i32_f32_e32 v2, v2
	v_cvt_i32_f32_e32 v13, v8
	s_mul_i32 s31, s18, s16
	s_mul_i32 s0, s31, s15
	s_mul_hi_u32 s1, s31, s14
	s_mul_i32 s6, s23, s13
	s_mul_hi_u32 s7, s23, s12
	v_min_i32_e32 v5, s16, v5
	v_min_i32_e32 v9, s18, v3
	;; [unrolled: 1-line block ×3, first 2 shown]
	s_add_i32 s0, s1, s0
	s_mul_i32 s1, s30, s14
	s_add_i32 s6, s7, s6
	s_mul_i32 s7, s22, s12
	v_min_i32_e32 v4, s16, v7
	v_min_i32_e32 v8, s18, v12
	;; [unrolled: 1-line block ×3, first 2 shown]
	s_add_i32 s33, s0, s1
	s_mul_i32 s34, s31, s14
	v_cmp_gt_i32_e64 s[0:1], v11, v13
	v_cmp_gt_i32_e64 s[2:3], v5, v7
	;; [unrolled: 1-line block ×3, first 2 shown]
	v_ashrrev_i32_e32 v7, 31, v6
	s_add_i32 s35, s6, s7
	s_mul_i32 s36, s23, s12
	s_mov_b64 s[14:15], 0
	s_branch .LBB16_33
.LBB16_31:                              ;   in Loop: Header=BB16_33 Depth=1
	s_or_b64 exec, exec, s[16:17]
.LBB16_32:                              ;   in Loop: Header=BB16_33 Depth=1
	s_or_b64 exec, exec, s[6:7]
	v_lshlrev_b64 v[2:3], 2, v[0:1]
	v_mov_b32_e32 v13, s27
	v_add_co_u32_e32 v2, vcc, s26, v2
	v_addc_co_u32_e32 v3, vcc, v13, v3, vcc
	s_add_u32 s14, s14, 1
	global_store_dword v[2:3], v12, off
	s_addc_u32 s15, s15, 0
	v_mov_b32_e32 v2, s14
	v_mov_b32_e32 v3, s15
	v_cmp_le_u64_e32 vcc, s[10:11], v[2:3]
	v_mov_b32_e32 v12, s35
	v_add_co_u32_e64 v0, s[6:7], s36, v0
	v_addc_co_u32_e64 v1, s[6:7], v1, v12, s[6:7]
	s_cbranch_vccnz .LBB16_44
.LBB16_33:                              ; =>This Loop Header: Depth=1
                                        ;     Child Loop BB16_37 Depth 2
                                        ;       Child Loop BB16_40 Depth 3
                                        ;         Child Loop BB16_42 Depth 4
	v_mov_b32_e32 v12, 0
	s_and_saveexec_b64 s[6:7], s[0:1]
	s_cbranch_execz .LBB16_32
; %bb.34:                               ;   in Loop: Header=BB16_33 Depth=1
	v_mov_b32_e32 v2, s12
	v_mad_u64_u32 v[2:3], s[16:17], s14, v2, v[6:7]
	s_mul_i32 s16, s15, s12
	s_mul_i32 s17, s14, s13
	s_add_i32 s17, s17, s16
	v_add_u32_e32 v3, s17, v3
	v_mul_lo_u32 v12, s34, v3
	v_mul_lo_u32 v13, s33, v2
	v_mad_u64_u32 v[2:3], s[16:17], s34, v2, 0
	s_mov_b64 s[16:17], 0
	v_mov_b32_e32 v15, v10
	v_add3_u32 v3, v3, v12, v13
	v_lshlrev_b64 v[2:3], 2, v[2:3]
	v_mov_b32_e32 v12, s9
	v_add_co_u32_e32 v13, vcc, s8, v2
	v_addc_co_u32_e32 v14, vcc, v12, v3, vcc
	v_mov_b32_e32 v12, 0
	s_branch .LBB16_37
.LBB16_35:                              ;   in Loop: Header=BB16_37 Depth=2
	s_or_b64 exec, exec, s[22:23]
.LBB16_36:                              ;   in Loop: Header=BB16_37 Depth=2
	s_or_b64 exec, exec, s[20:21]
	v_add_u32_e32 v15, 1, v15
	v_cmp_ge_i32_e32 vcc, v15, v11
	s_or_b64 s[16:17], vcc, s[16:17]
	s_andn2_b64 exec, exec, s[16:17]
	s_cbranch_execz .LBB16_31
.LBB16_37:                              ;   Parent Loop BB16_33 Depth=1
                                        ; =>  This Loop Header: Depth=2
                                        ;       Child Loop BB16_40 Depth 3
                                        ;         Child Loop BB16_42 Depth 4
	s_and_saveexec_b64 s[20:21], s[2:3]
	s_cbranch_execz .LBB16_36
; %bb.38:                               ;   in Loop: Header=BB16_37 Depth=2
	v_ashrrev_i32_e32 v16, 31, v15
	v_mul_lo_u32 v17, s30, v15
	v_mad_u64_u32 v[2:3], s[22:23], s31, v15, 0
	v_mul_lo_u32 v16, s31, v16
	s_mov_b64 s[22:23], 0
	v_mov_b32_e32 v18, v4
	v_add3_u32 v3, v3, v16, v17
	v_lshlrev_b64 v[2:3], 2, v[2:3]
	v_add_co_u32_e32 v16, vcc, v13, v2
	v_addc_co_u32_e32 v17, vcc, v14, v3, vcc
	s_branch .LBB16_40
.LBB16_39:                              ;   in Loop: Header=BB16_40 Depth=3
	s_or_b64 exec, exec, s[24:25]
	v_add_u32_e32 v18, 1, v18
	v_cmp_ge_i32_e32 vcc, v18, v5
	s_or_b64 s[22:23], vcc, s[22:23]
	s_andn2_b64 exec, exec, s[22:23]
	s_cbranch_execz .LBB16_35
.LBB16_40:                              ;   Parent Loop BB16_33 Depth=1
                                        ;     Parent Loop BB16_37 Depth=2
                                        ; =>    This Loop Header: Depth=3
                                        ;         Child Loop BB16_42 Depth 4
	s_and_saveexec_b64 s[24:25], s[4:5]
	s_cbranch_execz .LBB16_39
; %bb.41:                               ;   in Loop: Header=BB16_40 Depth=3
	v_ashrrev_i32_e32 v19, 31, v18
	v_mul_lo_u32 v20, s19, v18
	v_mad_u64_u32 v[2:3], s[28:29], s18, v18, 0
	v_mul_lo_u32 v19, s18, v19
	s_mov_b64 s[28:29], 0
	v_add3_u32 v3, v3, v19, v20
	v_lshlrev_b64 v[2:3], 2, v[2:3]
	v_add_co_u32_e32 v19, vcc, v16, v2
	v_addc_co_u32_e32 v20, vcc, v17, v3, vcc
	v_mov_b32_e32 v2, v8
.LBB16_42:                              ;   Parent Loop BB16_33 Depth=1
                                        ;     Parent Loop BB16_37 Depth=2
                                        ;       Parent Loop BB16_40 Depth=3
                                        ; =>      This Inner Loop Header: Depth=4
	v_ashrrev_i32_e32 v3, 31, v2
	v_lshlrev_b64 v[21:22], 2, v[2:3]
	v_add_u32_e32 v2, 1, v2
	v_add_co_u32_e32 v21, vcc, v19, v21
	v_addc_co_u32_e32 v22, vcc, v20, v22, vcc
	global_load_dword v3, v[21:22], off
	v_cmp_ge_i32_e32 vcc, v2, v9
	s_or_b64 s[28:29], vcc, s[28:29]
	s_waitcnt vmcnt(0)
	v_add_f32_e32 v12, v12, v3
	s_andn2_b64 exec, exec, s[28:29]
	s_cbranch_execnz .LBB16_42
; %bb.43:                               ;   in Loop: Header=BB16_40 Depth=3
	s_or_b64 exec, exec, s[28:29]
	s_branch .LBB16_39
.LBB16_44:
	s_endpgm
	.section	.rodata,"a",@progbits
	.p2align	6, 0x0
	.amdhsa_kernel _ZN2at6native12_GLOBAL__N_137upsample_nearest3d_backward_out_frameIffXadL_ZNS0_46nearest_neighbor_exact_bw_compute_source_indexEfiiEEEEvPKT_mmmmmmmmPS3_fff
		.amdhsa_group_segment_fixed_size 0
		.amdhsa_private_segment_fixed_size 0
		.amdhsa_kernarg_size 352
		.amdhsa_user_sgpr_count 6
		.amdhsa_user_sgpr_private_segment_buffer 1
		.amdhsa_user_sgpr_dispatch_ptr 0
		.amdhsa_user_sgpr_queue_ptr 0
		.amdhsa_user_sgpr_kernarg_segment_ptr 1
		.amdhsa_user_sgpr_dispatch_id 0
		.amdhsa_user_sgpr_flat_scratch_init 0
		.amdhsa_user_sgpr_private_segment_size 0
		.amdhsa_uses_dynamic_stack 0
		.amdhsa_system_sgpr_private_segment_wavefront_offset 0
		.amdhsa_system_sgpr_workgroup_id_x 1
		.amdhsa_system_sgpr_workgroup_id_y 0
		.amdhsa_system_sgpr_workgroup_id_z 0
		.amdhsa_system_sgpr_workgroup_info 0
		.amdhsa_system_vgpr_workitem_id 0
		.amdhsa_next_free_vgpr 23
		.amdhsa_next_free_sgpr 37
		.amdhsa_reserve_vcc 1
		.amdhsa_reserve_flat_scratch 0
		.amdhsa_float_round_mode_32 0
		.amdhsa_float_round_mode_16_64 0
		.amdhsa_float_denorm_mode_32 3
		.amdhsa_float_denorm_mode_16_64 3
		.amdhsa_dx10_clamp 1
		.amdhsa_ieee_mode 1
		.amdhsa_fp16_overflow 0
		.amdhsa_exception_fp_ieee_invalid_op 0
		.amdhsa_exception_fp_denorm_src 0
		.amdhsa_exception_fp_ieee_div_zero 0
		.amdhsa_exception_fp_ieee_overflow 0
		.amdhsa_exception_fp_ieee_underflow 0
		.amdhsa_exception_fp_ieee_inexact 0
		.amdhsa_exception_int_div_zero 0
	.end_amdhsa_kernel
	.section	.text._ZN2at6native12_GLOBAL__N_137upsample_nearest3d_backward_out_frameIffXadL_ZNS0_46nearest_neighbor_exact_bw_compute_source_indexEfiiEEEEvPKT_mmmmmmmmPS3_fff,"axG",@progbits,_ZN2at6native12_GLOBAL__N_137upsample_nearest3d_backward_out_frameIffXadL_ZNS0_46nearest_neighbor_exact_bw_compute_source_indexEfiiEEEEvPKT_mmmmmmmmPS3_fff,comdat
.Lfunc_end16:
	.size	_ZN2at6native12_GLOBAL__N_137upsample_nearest3d_backward_out_frameIffXadL_ZNS0_46nearest_neighbor_exact_bw_compute_source_indexEfiiEEEEvPKT_mmmmmmmmPS3_fff, .Lfunc_end16-_ZN2at6native12_GLOBAL__N_137upsample_nearest3d_backward_out_frameIffXadL_ZNS0_46nearest_neighbor_exact_bw_compute_source_indexEfiiEEEEvPKT_mmmmmmmmPS3_fff
                                        ; -- End function
	.set _ZN2at6native12_GLOBAL__N_137upsample_nearest3d_backward_out_frameIffXadL_ZNS0_46nearest_neighbor_exact_bw_compute_source_indexEfiiEEEEvPKT_mmmmmmmmPS3_fff.num_vgpr, 23
	.set _ZN2at6native12_GLOBAL__N_137upsample_nearest3d_backward_out_frameIffXadL_ZNS0_46nearest_neighbor_exact_bw_compute_source_indexEfiiEEEEvPKT_mmmmmmmmPS3_fff.num_agpr, 0
	.set _ZN2at6native12_GLOBAL__N_137upsample_nearest3d_backward_out_frameIffXadL_ZNS0_46nearest_neighbor_exact_bw_compute_source_indexEfiiEEEEvPKT_mmmmmmmmPS3_fff.numbered_sgpr, 37
	.set _ZN2at6native12_GLOBAL__N_137upsample_nearest3d_backward_out_frameIffXadL_ZNS0_46nearest_neighbor_exact_bw_compute_source_indexEfiiEEEEvPKT_mmmmmmmmPS3_fff.num_named_barrier, 0
	.set _ZN2at6native12_GLOBAL__N_137upsample_nearest3d_backward_out_frameIffXadL_ZNS0_46nearest_neighbor_exact_bw_compute_source_indexEfiiEEEEvPKT_mmmmmmmmPS3_fff.private_seg_size, 0
	.set _ZN2at6native12_GLOBAL__N_137upsample_nearest3d_backward_out_frameIffXadL_ZNS0_46nearest_neighbor_exact_bw_compute_source_indexEfiiEEEEvPKT_mmmmmmmmPS3_fff.uses_vcc, 1
	.set _ZN2at6native12_GLOBAL__N_137upsample_nearest3d_backward_out_frameIffXadL_ZNS0_46nearest_neighbor_exact_bw_compute_source_indexEfiiEEEEvPKT_mmmmmmmmPS3_fff.uses_flat_scratch, 0
	.set _ZN2at6native12_GLOBAL__N_137upsample_nearest3d_backward_out_frameIffXadL_ZNS0_46nearest_neighbor_exact_bw_compute_source_indexEfiiEEEEvPKT_mmmmmmmmPS3_fff.has_dyn_sized_stack, 0
	.set _ZN2at6native12_GLOBAL__N_137upsample_nearest3d_backward_out_frameIffXadL_ZNS0_46nearest_neighbor_exact_bw_compute_source_indexEfiiEEEEvPKT_mmmmmmmmPS3_fff.has_recursion, 0
	.set _ZN2at6native12_GLOBAL__N_137upsample_nearest3d_backward_out_frameIffXadL_ZNS0_46nearest_neighbor_exact_bw_compute_source_indexEfiiEEEEvPKT_mmmmmmmmPS3_fff.has_indirect_call, 0
	.section	.AMDGPU.csdata,"",@progbits
; Kernel info:
; codeLenInByte = 5636
; TotalNumSgprs: 41
; NumVgprs: 23
; ScratchSize: 0
; MemoryBound: 0
; FloatMode: 240
; IeeeMode: 1
; LDSByteSize: 0 bytes/workgroup (compile time only)
; SGPRBlocks: 5
; VGPRBlocks: 5
; NumSGPRsForWavesPerEU: 41
; NumVGPRsForWavesPerEU: 23
; Occupancy: 10
; WaveLimiterHint : 0
; COMPUTE_PGM_RSRC2:SCRATCH_EN: 0
; COMPUTE_PGM_RSRC2:USER_SGPR: 6
; COMPUTE_PGM_RSRC2:TRAP_HANDLER: 0
; COMPUTE_PGM_RSRC2:TGID_X_EN: 1
; COMPUTE_PGM_RSRC2:TGID_Y_EN: 0
; COMPUTE_PGM_RSRC2:TGID_Z_EN: 0
; COMPUTE_PGM_RSRC2:TIDIG_COMP_CNT: 0
	.section	.text._ZN2at6native12_GLOBAL__N_137upsample_nearest3d_backward_out_frameIN3c104HalfEfXadL_ZNS0_46nearest_neighbor_exact_bw_compute_source_indexEfiiEEEEvPKT_mmmmmmmmPS5_fff,"axG",@progbits,_ZN2at6native12_GLOBAL__N_137upsample_nearest3d_backward_out_frameIN3c104HalfEfXadL_ZNS0_46nearest_neighbor_exact_bw_compute_source_indexEfiiEEEEvPKT_mmmmmmmmPS5_fff,comdat
	.globl	_ZN2at6native12_GLOBAL__N_137upsample_nearest3d_backward_out_frameIN3c104HalfEfXadL_ZNS0_46nearest_neighbor_exact_bw_compute_source_indexEfiiEEEEvPKT_mmmmmmmmPS5_fff ; -- Begin function _ZN2at6native12_GLOBAL__N_137upsample_nearest3d_backward_out_frameIN3c104HalfEfXadL_ZNS0_46nearest_neighbor_exact_bw_compute_source_indexEfiiEEEEvPKT_mmmmmmmmPS5_fff
	.p2align	8
	.type	_ZN2at6native12_GLOBAL__N_137upsample_nearest3d_backward_out_frameIN3c104HalfEfXadL_ZNS0_46nearest_neighbor_exact_bw_compute_source_indexEfiiEEEEvPKT_mmmmmmmmPS5_fff,@function
_ZN2at6native12_GLOBAL__N_137upsample_nearest3d_backward_out_frameIN3c104HalfEfXadL_ZNS0_46nearest_neighbor_exact_bw_compute_source_indexEfiiEEEEvPKT_mmmmmmmmPS5_fff: ; @_ZN2at6native12_GLOBAL__N_137upsample_nearest3d_backward_out_frameIN3c104HalfEfXadL_ZNS0_46nearest_neighbor_exact_bw_compute_source_indexEfiiEEEEvPKT_mmmmmmmmPS5_fff
; %bb.0:
	s_load_dword s0, s[4:5], 0x6c
	s_load_dwordx4 s[24:27], s[4:5], 0x40
	s_load_dwordx16 s[8:23], s[4:5], 0x0
	v_mov_b32_e32 v2, 0
	v_mov_b32_e32 v1, v2
	s_waitcnt lgkmcnt(0)
	s_and_b32 s0, s0, 0xffff
	v_mov_b32_e32 v3, s6
	v_mad_u64_u32 v[0:1], s[0:1], s0, v3, v[0:1]
	s_mul_i32 s0, s22, s21
	s_mul_hi_u32 s1, s22, s20
	s_add_i32 s7, s1, s0
	s_mul_i32 s0, s23, s20
	s_mul_i32 s6, s22, s20
	s_add_i32 s7, s7, s0
	s_mul_i32 s0, s6, s13
	s_mul_hi_u32 s1, s6, s12
	s_add_i32 s0, s1, s0
	s_mul_i32 s1, s7, s12
	s_mul_i32 s2, s6, s12
	s_add_i32 s0, s0, s1
	s_mul_i32 s1, s2, s25
	s_mul_hi_u32 s3, s2, s24
	s_mul_i32 s0, s0, s24
	s_add_i32 s1, s3, s1
	s_add_i32 s1, s1, s0
	s_mul_i32 s0, s2, s24
	v_cmp_gt_u64_e32 vcc, s[0:1], v[0:1]
	s_and_saveexec_b64 s[0:1], vcc
	s_cbranch_execz .LBB17_44
; %bb.1:
	v_or_b32_e32 v3, s23, v1
	v_cmp_ne_u64_e32 vcc, 0, v[2:3]
                                        ; implicit-def: $vgpr2_vgpr3
	s_and_saveexec_b64 s[0:1], vcc
	s_xor_b64 s[2:3], exec, s[0:1]
	s_cbranch_execz .LBB17_3
; %bb.2:
	v_cvt_f32_u32_e32 v2, s22
	v_cvt_f32_u32_e32 v3, s23
	s_sub_u32 s28, 0, s22
	s_subb_u32 s29, 0, s23
	v_madmk_f32 v2, v3, 0x4f800000, v2
	v_rcp_f32_e32 v2, v2
	v_mul_f32_e32 v2, 0x5f7ffffc, v2
	v_mul_f32_e32 v3, 0x2f800000, v2
	v_trunc_f32_e32 v3, v3
	v_madmk_f32 v2, v3, 0xcf800000, v2
	v_cvt_u32_f32_e32 v3, v3
	v_cvt_u32_f32_e32 v2, v2
	v_readfirstlane_b32 s30, v3
	v_readfirstlane_b32 s0, v2
	s_mul_i32 s1, s28, s30
	s_mul_hi_u32 s33, s28, s0
	s_mul_i32 s31, s29, s0
	s_add_i32 s1, s33, s1
	s_mul_i32 s34, s28, s0
	s_add_i32 s1, s1, s31
	s_mul_i32 s33, s0, s1
	s_mul_hi_u32 s35, s0, s34
	s_mul_hi_u32 s31, s0, s1
	s_add_u32 s33, s35, s33
	s_addc_u32 s31, 0, s31
	s_mul_hi_u32 s36, s30, s34
	s_mul_i32 s34, s30, s34
	s_add_u32 s33, s33, s34
	s_mul_hi_u32 s35, s30, s1
	s_addc_u32 s31, s31, s36
	s_addc_u32 s33, s35, 0
	s_mul_i32 s1, s30, s1
	s_add_u32 s1, s31, s1
	s_addc_u32 s31, 0, s33
	s_add_u32 s33, s0, s1
	s_cselect_b64 s[0:1], -1, 0
	s_cmp_lg_u64 s[0:1], 0
	s_addc_u32 s30, s30, s31
	s_mul_i32 s0, s28, s30
	s_mul_hi_u32 s1, s28, s33
	s_add_i32 s0, s1, s0
	s_mul_i32 s29, s29, s33
	s_add_i32 s0, s0, s29
	s_mul_i32 s28, s28, s33
	s_mul_hi_u32 s29, s30, s28
	s_mul_i32 s31, s30, s28
	s_mul_i32 s35, s33, s0
	s_mul_hi_u32 s28, s33, s28
	s_mul_hi_u32 s34, s33, s0
	s_add_u32 s28, s28, s35
	s_addc_u32 s34, 0, s34
	s_add_u32 s28, s28, s31
	s_mul_hi_u32 s1, s30, s0
	s_addc_u32 s28, s34, s29
	s_addc_u32 s1, s1, 0
	s_mul_i32 s0, s30, s0
	s_add_u32 s0, s28, s0
	s_addc_u32 s28, 0, s1
	s_add_u32 s29, s33, s0
	s_cselect_b64 s[0:1], -1, 0
	s_cmp_lg_u64 s[0:1], 0
	s_addc_u32 s28, s30, s28
	v_mad_u64_u32 v[2:3], s[0:1], v0, s28, 0
	v_mul_hi_u32 v4, v0, s29
	v_add_co_u32_e32 v6, vcc, v4, v2
	v_addc_co_u32_e32 v7, vcc, 0, v3, vcc
	v_mad_u64_u32 v[2:3], s[0:1], v1, s29, 0
	v_mad_u64_u32 v[4:5], s[0:1], v1, s28, 0
	v_add_co_u32_e32 v2, vcc, v6, v2
	v_addc_co_u32_e32 v2, vcc, v7, v3, vcc
	v_addc_co_u32_e32 v3, vcc, 0, v5, vcc
	v_add_co_u32_e32 v4, vcc, v2, v4
	v_addc_co_u32_e32 v5, vcc, 0, v3, vcc
	v_mul_lo_u32 v6, s23, v4
	v_mul_lo_u32 v7, s22, v5
	v_mad_u64_u32 v[2:3], s[0:1], s22, v4, 0
	v_add3_u32 v3, v3, v7, v6
	v_sub_u32_e32 v6, v1, v3
	v_mov_b32_e32 v7, s23
	v_sub_co_u32_e32 v2, vcc, v0, v2
	v_subb_co_u32_e64 v6, s[0:1], v6, v7, vcc
	v_subrev_co_u32_e64 v7, s[0:1], s22, v2
	v_subbrev_co_u32_e64 v6, s[0:1], 0, v6, s[0:1]
	v_cmp_le_u32_e64 s[0:1], s23, v6
	v_cndmask_b32_e64 v8, 0, -1, s[0:1]
	v_cmp_le_u32_e64 s[0:1], s22, v7
	v_cndmask_b32_e64 v7, 0, -1, s[0:1]
	v_cmp_eq_u32_e64 s[0:1], s23, v6
	v_cndmask_b32_e64 v6, v8, v7, s[0:1]
	v_add_co_u32_e64 v7, s[0:1], 2, v4
	v_addc_co_u32_e64 v8, s[0:1], 0, v5, s[0:1]
	v_add_co_u32_e64 v9, s[0:1], 1, v4
	v_addc_co_u32_e64 v10, s[0:1], 0, v5, s[0:1]
	v_subb_co_u32_e32 v3, vcc, v1, v3, vcc
	v_cmp_ne_u32_e64 s[0:1], 0, v6
	v_cmp_le_u32_e32 vcc, s23, v3
	v_cndmask_b32_e64 v6, v10, v8, s[0:1]
	v_cndmask_b32_e64 v8, 0, -1, vcc
	v_cmp_le_u32_e32 vcc, s22, v2
	v_cndmask_b32_e64 v2, 0, -1, vcc
	v_cmp_eq_u32_e32 vcc, s23, v3
	v_cndmask_b32_e32 v2, v8, v2, vcc
	v_cmp_ne_u32_e32 vcc, 0, v2
	v_cndmask_b32_e64 v2, v9, v7, s[0:1]
	v_cndmask_b32_e32 v3, v5, v6, vcc
	v_cndmask_b32_e32 v2, v4, v2, vcc
.LBB17_3:
	s_andn2_saveexec_b64 s[0:1], s[2:3]
	s_cbranch_execz .LBB17_5
; %bb.4:
	v_cvt_f32_u32_e32 v2, s22
	s_sub_i32 s2, 0, s22
	v_rcp_iflag_f32_e32 v2, v2
	v_mul_f32_e32 v2, 0x4f7ffffe, v2
	v_cvt_u32_f32_e32 v2, v2
	v_mul_lo_u32 v3, s2, v2
	v_mul_hi_u32 v3, v2, v3
	v_add_u32_e32 v2, v2, v3
	v_mul_hi_u32 v2, v0, v2
	v_mul_lo_u32 v3, v2, s22
	v_add_u32_e32 v4, 1, v2
	v_sub_u32_e32 v3, v0, v3
	v_subrev_u32_e32 v5, s22, v3
	v_cmp_le_u32_e32 vcc, s22, v3
	v_cndmask_b32_e32 v3, v3, v5, vcc
	v_cndmask_b32_e32 v2, v2, v4, vcc
	v_add_u32_e32 v4, 1, v2
	v_cmp_le_u32_e32 vcc, s22, v3
	v_cndmask_b32_e32 v2, v2, v4, vcc
	v_mov_b32_e32 v3, 0
.LBB17_5:
	s_or_b64 exec, exec, s[0:1]
	v_or_b32_e32 v5, s25, v3
	v_mov_b32_e32 v4, 0
	v_cmp_ne_u64_e32 vcc, 0, v[4:5]
                                        ; implicit-def: $vgpr4_vgpr5
	s_and_saveexec_b64 s[0:1], vcc
	s_xor_b64 s[2:3], exec, s[0:1]
	s_cbranch_execz .LBB17_7
; %bb.6:
	v_cvt_f32_u32_e32 v4, s24
	v_cvt_f32_u32_e32 v5, s25
	s_sub_u32 s28, 0, s24
	s_subb_u32 s29, 0, s25
	v_madmk_f32 v4, v5, 0x4f800000, v4
	v_rcp_f32_e32 v4, v4
	v_mul_f32_e32 v4, 0x5f7ffffc, v4
	v_mul_f32_e32 v5, 0x2f800000, v4
	v_trunc_f32_e32 v5, v5
	v_madmk_f32 v4, v5, 0xcf800000, v4
	v_cvt_u32_f32_e32 v5, v5
	v_cvt_u32_f32_e32 v4, v4
	v_readfirstlane_b32 s30, v5
	v_readfirstlane_b32 s0, v4
	s_mul_i32 s1, s28, s30
	s_mul_hi_u32 s33, s28, s0
	s_mul_i32 s31, s29, s0
	s_add_i32 s1, s33, s1
	s_mul_i32 s34, s28, s0
	s_add_i32 s1, s1, s31
	s_mul_i32 s33, s0, s1
	s_mul_hi_u32 s35, s0, s34
	s_mul_hi_u32 s31, s0, s1
	s_add_u32 s33, s35, s33
	s_addc_u32 s31, 0, s31
	s_mul_hi_u32 s36, s30, s34
	s_mul_i32 s34, s30, s34
	s_add_u32 s33, s33, s34
	s_mul_hi_u32 s35, s30, s1
	s_addc_u32 s31, s31, s36
	s_addc_u32 s33, s35, 0
	s_mul_i32 s1, s30, s1
	s_add_u32 s1, s31, s1
	s_addc_u32 s31, 0, s33
	s_add_u32 s33, s0, s1
	s_cselect_b64 s[0:1], -1, 0
	s_cmp_lg_u64 s[0:1], 0
	s_addc_u32 s30, s30, s31
	s_mul_i32 s0, s28, s30
	s_mul_hi_u32 s1, s28, s33
	s_add_i32 s0, s1, s0
	s_mul_i32 s29, s29, s33
	s_add_i32 s0, s0, s29
	s_mul_i32 s28, s28, s33
	s_mul_hi_u32 s29, s30, s28
	s_mul_i32 s31, s30, s28
	s_mul_i32 s35, s33, s0
	s_mul_hi_u32 s28, s33, s28
	s_mul_hi_u32 s34, s33, s0
	s_add_u32 s28, s28, s35
	s_addc_u32 s34, 0, s34
	s_add_u32 s28, s28, s31
	s_mul_hi_u32 s1, s30, s0
	s_addc_u32 s28, s34, s29
	s_addc_u32 s1, s1, 0
	s_mul_i32 s0, s30, s0
	s_add_u32 s0, s28, s0
	s_addc_u32 s28, 0, s1
	s_add_u32 s29, s33, s0
	s_cselect_b64 s[0:1], -1, 0
	s_cmp_lg_u64 s[0:1], 0
	s_addc_u32 s28, s30, s28
	v_mad_u64_u32 v[4:5], s[0:1], v2, s28, 0
	v_mul_hi_u32 v6, v2, s29
	v_add_co_u32_e32 v8, vcc, v6, v4
	v_addc_co_u32_e32 v9, vcc, 0, v5, vcc
	v_mad_u64_u32 v[4:5], s[0:1], v3, s29, 0
	v_mad_u64_u32 v[6:7], s[0:1], v3, s28, 0
	v_add_co_u32_e32 v4, vcc, v8, v4
	v_addc_co_u32_e32 v4, vcc, v9, v5, vcc
	v_addc_co_u32_e32 v5, vcc, 0, v7, vcc
	v_add_co_u32_e32 v6, vcc, v4, v6
	v_addc_co_u32_e32 v7, vcc, 0, v5, vcc
	v_mul_lo_u32 v8, s25, v6
	v_mul_lo_u32 v9, s24, v7
	v_mad_u64_u32 v[4:5], s[0:1], s24, v6, 0
	v_add3_u32 v5, v5, v9, v8
	v_sub_u32_e32 v8, v3, v5
	v_mov_b32_e32 v9, s25
	v_sub_co_u32_e32 v2, vcc, v2, v4
	v_subb_co_u32_e64 v4, s[0:1], v8, v9, vcc
	v_subrev_co_u32_e64 v8, s[0:1], s24, v2
	v_subbrev_co_u32_e64 v4, s[0:1], 0, v4, s[0:1]
	v_cmp_le_u32_e64 s[0:1], s25, v4
	v_cndmask_b32_e64 v9, 0, -1, s[0:1]
	v_cmp_le_u32_e64 s[0:1], s24, v8
	v_cndmask_b32_e64 v8, 0, -1, s[0:1]
	v_cmp_eq_u32_e64 s[0:1], s25, v4
	v_cndmask_b32_e64 v4, v9, v8, s[0:1]
	v_add_co_u32_e64 v8, s[0:1], 2, v6
	v_subb_co_u32_e32 v3, vcc, v3, v5, vcc
	v_addc_co_u32_e64 v9, s[0:1], 0, v7, s[0:1]
	v_cmp_le_u32_e32 vcc, s25, v3
	v_add_co_u32_e64 v10, s[0:1], 1, v6
	v_cndmask_b32_e64 v5, 0, -1, vcc
	v_cmp_le_u32_e32 vcc, s24, v2
	v_addc_co_u32_e64 v11, s[0:1], 0, v7, s[0:1]
	v_cndmask_b32_e64 v2, 0, -1, vcc
	v_cmp_eq_u32_e32 vcc, s25, v3
	v_cmp_ne_u32_e64 s[0:1], 0, v4
	v_cndmask_b32_e32 v2, v5, v2, vcc
	v_cndmask_b32_e64 v4, v11, v9, s[0:1]
	v_cmp_ne_u32_e32 vcc, 0, v2
	v_cndmask_b32_e64 v2, v10, v8, s[0:1]
	v_cndmask_b32_e32 v5, v7, v4, vcc
	v_cndmask_b32_e32 v4, v6, v2, vcc
                                        ; implicit-def: $vgpr2_vgpr3
.LBB17_7:
	s_andn2_saveexec_b64 s[0:1], s[2:3]
	s_cbranch_execz .LBB17_9
; %bb.8:
	v_cvt_f32_u32_e32 v3, s24
	s_sub_i32 s2, 0, s24
	v_rcp_iflag_f32_e32 v3, v3
	v_mul_f32_e32 v3, 0x4f7ffffe, v3
	v_cvt_u32_f32_e32 v3, v3
	v_mul_lo_u32 v4, s2, v3
	v_mul_hi_u32 v4, v3, v4
	v_add_u32_e32 v3, v3, v4
	v_mul_hi_u32 v3, v2, v3
	v_mul_lo_u32 v4, v3, s24
	v_add_u32_e32 v5, 1, v3
	v_sub_u32_e32 v2, v2, v4
	v_subrev_u32_e32 v4, s24, v2
	v_cmp_le_u32_e32 vcc, s24, v2
	v_cndmask_b32_e32 v2, v2, v4, vcc
	v_cndmask_b32_e32 v3, v3, v5, vcc
	v_add_u32_e32 v4, 1, v3
	v_cmp_le_u32_e32 vcc, s24, v2
	v_cndmask_b32_e32 v4, v3, v4, vcc
	v_mov_b32_e32 v5, 0
.LBB17_9:
	s_or_b64 exec, exec, s[0:1]
	v_or_b32_e32 v3, s21, v5
	v_mov_b32_e32 v2, 0
	v_cmp_ne_u64_e32 vcc, 0, v[2:3]
                                        ; implicit-def: $vgpr2_vgpr3
	s_and_saveexec_b64 s[0:1], vcc
	s_xor_b64 s[2:3], exec, s[0:1]
	s_cbranch_execz .LBB17_11
; %bb.10:
	v_cvt_f32_u32_e32 v2, s20
	v_cvt_f32_u32_e32 v3, s21
	s_sub_u32 s28, 0, s20
	s_subb_u32 s29, 0, s21
	v_madmk_f32 v2, v3, 0x4f800000, v2
	v_rcp_f32_e32 v2, v2
	v_mul_f32_e32 v2, 0x5f7ffffc, v2
	v_mul_f32_e32 v3, 0x2f800000, v2
	v_trunc_f32_e32 v3, v3
	v_madmk_f32 v2, v3, 0xcf800000, v2
	v_cvt_u32_f32_e32 v3, v3
	v_cvt_u32_f32_e32 v2, v2
	v_readfirstlane_b32 s30, v3
	v_readfirstlane_b32 s0, v2
	s_mul_i32 s1, s28, s30
	s_mul_hi_u32 s33, s28, s0
	s_mul_i32 s31, s29, s0
	s_add_i32 s1, s33, s1
	s_mul_i32 s34, s28, s0
	s_add_i32 s1, s1, s31
	s_mul_i32 s33, s0, s1
	s_mul_hi_u32 s35, s0, s34
	s_mul_hi_u32 s31, s0, s1
	s_add_u32 s33, s35, s33
	s_addc_u32 s31, 0, s31
	s_mul_hi_u32 s36, s30, s34
	s_mul_i32 s34, s30, s34
	s_add_u32 s33, s33, s34
	s_mul_hi_u32 s35, s30, s1
	s_addc_u32 s31, s31, s36
	s_addc_u32 s33, s35, 0
	s_mul_i32 s1, s30, s1
	s_add_u32 s1, s31, s1
	s_addc_u32 s31, 0, s33
	s_add_u32 s33, s0, s1
	s_cselect_b64 s[0:1], -1, 0
	s_cmp_lg_u64 s[0:1], 0
	s_addc_u32 s30, s30, s31
	s_mul_i32 s0, s28, s30
	s_mul_hi_u32 s1, s28, s33
	s_add_i32 s0, s1, s0
	s_mul_i32 s29, s29, s33
	s_add_i32 s0, s0, s29
	s_mul_i32 s28, s28, s33
	s_mul_hi_u32 s29, s30, s28
	s_mul_i32 s31, s30, s28
	s_mul_i32 s35, s33, s0
	s_mul_hi_u32 s28, s33, s28
	s_mul_hi_u32 s34, s33, s0
	s_add_u32 s28, s28, s35
	s_addc_u32 s34, 0, s34
	s_add_u32 s28, s28, s31
	s_mul_hi_u32 s1, s30, s0
	s_addc_u32 s28, s34, s29
	s_addc_u32 s1, s1, 0
	s_mul_i32 s0, s30, s0
	s_add_u32 s0, s28, s0
	s_addc_u32 s28, 0, s1
	s_add_u32 s29, s33, s0
	s_cselect_b64 s[0:1], -1, 0
	s_cmp_lg_u64 s[0:1], 0
	s_addc_u32 s28, s30, s28
	v_mad_u64_u32 v[2:3], s[0:1], v4, s28, 0
	v_mul_hi_u32 v6, v4, s29
	v_add_co_u32_e32 v8, vcc, v6, v2
	v_addc_co_u32_e32 v9, vcc, 0, v3, vcc
	v_mad_u64_u32 v[2:3], s[0:1], v5, s29, 0
	v_mad_u64_u32 v[6:7], s[0:1], v5, s28, 0
	v_add_co_u32_e32 v2, vcc, v8, v2
	v_addc_co_u32_e32 v2, vcc, v9, v3, vcc
	v_addc_co_u32_e32 v3, vcc, 0, v7, vcc
	v_add_co_u32_e32 v2, vcc, v2, v6
	v_addc_co_u32_e32 v3, vcc, 0, v3, vcc
	v_mul_lo_u32 v6, s21, v2
	v_mul_lo_u32 v7, s20, v3
	v_mad_u64_u32 v[2:3], s[0:1], s20, v2, 0
	v_add3_u32 v3, v3, v7, v6
	v_sub_u32_e32 v6, v5, v3
	v_mov_b32_e32 v7, s21
	v_sub_co_u32_e32 v2, vcc, v4, v2
	v_subb_co_u32_e64 v4, s[0:1], v6, v7, vcc
	v_subrev_co_u32_e64 v6, s[0:1], s20, v2
	v_subbrev_co_u32_e64 v4, s[0:1], 0, v4, s[0:1]
	v_cmp_le_u32_e64 s[0:1], s21, v4
	v_subb_co_u32_e32 v3, vcc, v5, v3, vcc
	v_cndmask_b32_e64 v7, 0, -1, s[0:1]
	v_cmp_le_u32_e64 s[0:1], s20, v6
	v_cmp_le_u32_e32 vcc, s21, v3
	v_cndmask_b32_e64 v8, 0, -1, s[0:1]
	v_cmp_eq_u32_e64 s[0:1], s21, v4
	v_cndmask_b32_e64 v5, 0, -1, vcc
	v_cmp_le_u32_e32 vcc, s20, v2
	v_cndmask_b32_e64 v4, v7, v8, s[0:1]
	v_cndmask_b32_e64 v8, 0, -1, vcc
	v_cmp_eq_u32_e32 vcc, s21, v3
	v_subrev_co_u32_e64 v7, s[0:1], s20, v6
	v_cndmask_b32_e32 v3, v5, v8, vcc
	v_cmp_ne_u32_e32 vcc, 0, v4
	v_cndmask_b32_e32 v4, v6, v7, vcc
	v_cmp_ne_u32_e32 vcc, 0, v3
	v_cndmask_b32_e32 v2, v2, v4, vcc
                                        ; implicit-def: $vgpr4_vgpr5
.LBB17_11:
	s_andn2_saveexec_b64 s[0:1], s[2:3]
	s_cbranch_execz .LBB17_13
; %bb.12:
	v_cvt_f32_u32_e32 v2, s20
	s_sub_i32 s2, 0, s20
	v_rcp_iflag_f32_e32 v2, v2
	v_mul_f32_e32 v2, 0x4f7ffffe, v2
	v_cvt_u32_f32_e32 v2, v2
	v_mul_lo_u32 v3, s2, v2
	v_mul_hi_u32 v3, v2, v3
	v_add_u32_e32 v2, v2, v3
	v_mul_hi_u32 v2, v4, v2
	v_mul_lo_u32 v2, v2, s20
	v_sub_u32_e32 v2, v4, v2
	v_subrev_u32_e32 v3, s20, v2
	v_cmp_le_u32_e32 vcc, s20, v2
	v_cndmask_b32_e32 v2, v2, v3, vcc
	v_subrev_u32_e32 v3, s20, v2
	v_cmp_le_u32_e32 vcc, s20, v2
	v_cndmask_b32_e32 v2, v2, v3, vcc
.LBB17_13:
	s_or_b64 exec, exec, s[0:1]
	v_or_b32_e32 v4, s25, v1
	v_mov_b32_e32 v3, 0
	v_cmp_ne_u64_e32 vcc, 0, v[3:4]
                                        ; implicit-def: $vgpr3_vgpr4
	s_and_saveexec_b64 s[0:1], vcc
	s_xor_b64 s[2:3], exec, s[0:1]
	s_cbranch_execz .LBB17_15
; %bb.14:
	v_cvt_f32_u32_e32 v3, s24
	v_cvt_f32_u32_e32 v4, s25
	s_sub_u32 s20, 0, s24
	s_subb_u32 s21, 0, s25
	v_madmk_f32 v3, v4, 0x4f800000, v3
	v_rcp_f32_e32 v3, v3
	v_mul_f32_e32 v3, 0x5f7ffffc, v3
	v_mul_f32_e32 v4, 0x2f800000, v3
	v_trunc_f32_e32 v4, v4
	v_madmk_f32 v3, v4, 0xcf800000, v3
	v_cvt_u32_f32_e32 v4, v4
	v_cvt_u32_f32_e32 v3, v3
	v_readfirstlane_b32 s28, v4
	v_readfirstlane_b32 s0, v3
	s_mul_i32 s1, s20, s28
	s_mul_hi_u32 s30, s20, s0
	s_mul_i32 s29, s21, s0
	s_add_i32 s1, s30, s1
	s_mul_i32 s31, s20, s0
	s_add_i32 s1, s1, s29
	s_mul_i32 s30, s0, s1
	s_mul_hi_u32 s33, s0, s31
	s_mul_hi_u32 s29, s0, s1
	s_add_u32 s30, s33, s30
	s_addc_u32 s29, 0, s29
	s_mul_hi_u32 s34, s28, s31
	s_mul_i32 s31, s28, s31
	s_add_u32 s30, s30, s31
	s_mul_hi_u32 s33, s28, s1
	s_addc_u32 s29, s29, s34
	s_addc_u32 s30, s33, 0
	s_mul_i32 s1, s28, s1
	s_add_u32 s1, s29, s1
	s_addc_u32 s29, 0, s30
	s_add_u32 s30, s0, s1
	s_cselect_b64 s[0:1], -1, 0
	s_cmp_lg_u64 s[0:1], 0
	s_addc_u32 s28, s28, s29
	s_mul_i32 s0, s20, s28
	s_mul_hi_u32 s1, s20, s30
	s_add_i32 s0, s1, s0
	s_mul_i32 s21, s21, s30
	s_add_i32 s0, s0, s21
	s_mul_i32 s20, s20, s30
	s_mul_hi_u32 s21, s28, s20
	s_mul_i32 s29, s28, s20
	s_mul_i32 s33, s30, s0
	s_mul_hi_u32 s20, s30, s20
	s_mul_hi_u32 s31, s30, s0
	s_add_u32 s20, s20, s33
	s_addc_u32 s31, 0, s31
	s_add_u32 s20, s20, s29
	s_mul_hi_u32 s1, s28, s0
	s_addc_u32 s20, s31, s21
	s_addc_u32 s1, s1, 0
	s_mul_i32 s0, s28, s0
	s_add_u32 s0, s20, s0
	s_addc_u32 s20, 0, s1
	s_add_u32 s21, s30, s0
	s_cselect_b64 s[0:1], -1, 0
	s_cmp_lg_u64 s[0:1], 0
	s_addc_u32 s20, s28, s20
	v_mad_u64_u32 v[3:4], s[0:1], v0, s20, 0
	v_mul_hi_u32 v5, v0, s21
	v_add_co_u32_e32 v7, vcc, v5, v3
	v_addc_co_u32_e32 v8, vcc, 0, v4, vcc
	v_mad_u64_u32 v[3:4], s[0:1], v1, s21, 0
	v_mad_u64_u32 v[5:6], s[0:1], v1, s20, 0
	v_add_co_u32_e32 v3, vcc, v7, v3
	v_addc_co_u32_e32 v3, vcc, v8, v4, vcc
	v_addc_co_u32_e32 v4, vcc, 0, v6, vcc
	v_add_co_u32_e32 v5, vcc, v3, v5
	v_addc_co_u32_e32 v6, vcc, 0, v4, vcc
	v_mul_lo_u32 v7, s25, v5
	v_mul_lo_u32 v8, s24, v6
	v_mad_u64_u32 v[3:4], s[0:1], s24, v5, 0
	v_add3_u32 v4, v4, v8, v7
	v_sub_u32_e32 v7, v1, v4
	v_mov_b32_e32 v8, s25
	v_sub_co_u32_e32 v3, vcc, v0, v3
	v_subb_co_u32_e64 v7, s[0:1], v7, v8, vcc
	v_subrev_co_u32_e64 v8, s[0:1], s24, v3
	v_subbrev_co_u32_e64 v7, s[0:1], 0, v7, s[0:1]
	v_cmp_le_u32_e64 s[0:1], s25, v7
	v_cndmask_b32_e64 v9, 0, -1, s[0:1]
	v_cmp_le_u32_e64 s[0:1], s24, v8
	v_cndmask_b32_e64 v8, 0, -1, s[0:1]
	v_cmp_eq_u32_e64 s[0:1], s25, v7
	v_cndmask_b32_e64 v7, v9, v8, s[0:1]
	v_add_co_u32_e64 v8, s[0:1], 2, v5
	v_addc_co_u32_e64 v9, s[0:1], 0, v6, s[0:1]
	v_add_co_u32_e64 v10, s[0:1], 1, v5
	v_addc_co_u32_e64 v11, s[0:1], 0, v6, s[0:1]
	v_subb_co_u32_e32 v4, vcc, v1, v4, vcc
	v_cmp_ne_u32_e64 s[0:1], 0, v7
	v_cmp_le_u32_e32 vcc, s25, v4
	v_cndmask_b32_e64 v7, v11, v9, s[0:1]
	v_cndmask_b32_e64 v9, 0, -1, vcc
	v_cmp_le_u32_e32 vcc, s24, v3
	v_cndmask_b32_e64 v3, 0, -1, vcc
	v_cmp_eq_u32_e32 vcc, s25, v4
	v_cndmask_b32_e32 v3, v9, v3, vcc
	v_cmp_ne_u32_e32 vcc, 0, v3
	v_cndmask_b32_e64 v3, v10, v8, s[0:1]
	v_cndmask_b32_e32 v4, v6, v7, vcc
	v_cndmask_b32_e32 v3, v5, v3, vcc
.LBB17_15:
	s_andn2_saveexec_b64 s[0:1], s[2:3]
	s_cbranch_execz .LBB17_17
; %bb.16:
	v_cvt_f32_u32_e32 v3, s24
	s_sub_i32 s2, 0, s24
	v_rcp_iflag_f32_e32 v3, v3
	v_mul_f32_e32 v3, 0x4f7ffffe, v3
	v_cvt_u32_f32_e32 v3, v3
	v_mul_lo_u32 v4, s2, v3
	v_mul_hi_u32 v4, v3, v4
	v_add_u32_e32 v3, v3, v4
	v_mul_hi_u32 v3, v0, v3
	v_mul_lo_u32 v4, v3, s24
	v_add_u32_e32 v5, 1, v3
	v_sub_u32_e32 v4, v0, v4
	v_subrev_u32_e32 v6, s24, v4
	v_cmp_le_u32_e32 vcc, s24, v4
	v_cndmask_b32_e32 v4, v4, v6, vcc
	v_cndmask_b32_e32 v3, v3, v5, vcc
	v_add_u32_e32 v5, 1, v3
	v_cmp_le_u32_e32 vcc, s24, v4
	v_cndmask_b32_e32 v3, v3, v5, vcc
	v_mov_b32_e32 v4, 0
.LBB17_17:
	s_or_b64 exec, exec, s[0:1]
	v_or_b32_e32 v6, s23, v4
	v_mov_b32_e32 v5, 0
	v_cmp_ne_u64_e32 vcc, 0, v[5:6]
                                        ; implicit-def: $vgpr5_vgpr6
	s_and_saveexec_b64 s[0:1], vcc
	s_xor_b64 s[2:3], exec, s[0:1]
	s_cbranch_execnz .LBB17_20
; %bb.18:
	s_andn2_saveexec_b64 s[0:1], s[2:3]
	s_cbranch_execnz .LBB17_21
.LBB17_19:
	s_or_b64 exec, exec, s[0:1]
	s_cmp_eq_u64 s[10:11], 0
	s_cbranch_scc0 .LBB17_22
	s_branch .LBB17_44
.LBB17_20:
	v_cvt_f32_u32_e32 v5, s22
	v_cvt_f32_u32_e32 v6, s23
	s_sub_u32 s20, 0, s22
	s_subb_u32 s21, 0, s23
	v_madmk_f32 v5, v6, 0x4f800000, v5
	v_rcp_f32_e32 v5, v5
	v_mul_f32_e32 v5, 0x5f7ffffc, v5
	v_mul_f32_e32 v6, 0x2f800000, v5
	v_trunc_f32_e32 v6, v6
	v_madmk_f32 v5, v6, 0xcf800000, v5
	v_cvt_u32_f32_e32 v6, v6
	v_cvt_u32_f32_e32 v5, v5
	v_readfirstlane_b32 s28, v6
	v_readfirstlane_b32 s0, v5
	s_mul_i32 s1, s20, s28
	s_mul_hi_u32 s30, s20, s0
	s_mul_i32 s29, s21, s0
	s_add_i32 s1, s30, s1
	s_mul_i32 s31, s20, s0
	s_add_i32 s1, s1, s29
	s_mul_i32 s30, s0, s1
	s_mul_hi_u32 s33, s0, s31
	s_mul_hi_u32 s29, s0, s1
	s_add_u32 s30, s33, s30
	s_addc_u32 s29, 0, s29
	s_mul_hi_u32 s34, s28, s31
	s_mul_i32 s31, s28, s31
	s_add_u32 s30, s30, s31
	s_mul_hi_u32 s33, s28, s1
	s_addc_u32 s29, s29, s34
	s_addc_u32 s30, s33, 0
	s_mul_i32 s1, s28, s1
	s_add_u32 s1, s29, s1
	s_addc_u32 s29, 0, s30
	s_add_u32 s30, s0, s1
	s_cselect_b64 s[0:1], -1, 0
	s_cmp_lg_u64 s[0:1], 0
	s_addc_u32 s28, s28, s29
	s_mul_i32 s0, s20, s28
	s_mul_hi_u32 s1, s20, s30
	s_add_i32 s0, s1, s0
	s_mul_i32 s21, s21, s30
	s_add_i32 s0, s0, s21
	s_mul_i32 s20, s20, s30
	s_mul_hi_u32 s21, s28, s20
	s_mul_i32 s29, s28, s20
	s_mul_i32 s33, s30, s0
	s_mul_hi_u32 s20, s30, s20
	s_mul_hi_u32 s31, s30, s0
	s_add_u32 s20, s20, s33
	s_addc_u32 s31, 0, s31
	s_add_u32 s20, s20, s29
	s_mul_hi_u32 s1, s28, s0
	s_addc_u32 s20, s31, s21
	s_addc_u32 s1, s1, 0
	s_mul_i32 s0, s28, s0
	s_add_u32 s0, s20, s0
	s_addc_u32 s20, 0, s1
	s_add_u32 s21, s30, s0
	s_cselect_b64 s[0:1], -1, 0
	s_cmp_lg_u64 s[0:1], 0
	s_addc_u32 s20, s28, s20
	v_mad_u64_u32 v[5:6], s[0:1], v3, s20, 0
	v_mul_hi_u32 v7, v3, s21
	v_add_co_u32_e32 v9, vcc, v7, v5
	v_addc_co_u32_e32 v10, vcc, 0, v6, vcc
	v_mad_u64_u32 v[5:6], s[0:1], v4, s21, 0
	v_mad_u64_u32 v[7:8], s[0:1], v4, s20, 0
	v_add_co_u32_e32 v5, vcc, v9, v5
	v_addc_co_u32_e32 v5, vcc, v10, v6, vcc
	v_addc_co_u32_e32 v6, vcc, 0, v8, vcc
	v_add_co_u32_e32 v5, vcc, v5, v7
	v_addc_co_u32_e32 v6, vcc, 0, v6, vcc
	v_mul_lo_u32 v7, s23, v5
	v_mul_lo_u32 v8, s22, v6
	v_mad_u64_u32 v[5:6], s[0:1], s22, v5, 0
	v_add3_u32 v6, v6, v8, v7
	v_sub_u32_e32 v7, v4, v6
	v_mov_b32_e32 v8, s23
	v_sub_co_u32_e32 v5, vcc, v3, v5
	v_subb_co_u32_e64 v7, s[0:1], v7, v8, vcc
	v_subrev_co_u32_e64 v8, s[0:1], s22, v5
	v_subbrev_co_u32_e64 v7, s[0:1], 0, v7, s[0:1]
	v_cmp_le_u32_e64 s[0:1], s23, v7
	v_subb_co_u32_e32 v4, vcc, v4, v6, vcc
	v_cndmask_b32_e64 v9, 0, -1, s[0:1]
	v_cmp_le_u32_e64 s[0:1], s22, v8
	v_cmp_le_u32_e32 vcc, s23, v4
	v_cndmask_b32_e64 v10, 0, -1, s[0:1]
	v_cmp_eq_u32_e64 s[0:1], s23, v7
	v_cndmask_b32_e64 v6, 0, -1, vcc
	v_cmp_le_u32_e32 vcc, s22, v5
	v_cndmask_b32_e64 v7, v9, v10, s[0:1]
	v_cndmask_b32_e64 v10, 0, -1, vcc
	v_cmp_eq_u32_e32 vcc, s23, v4
	v_subrev_co_u32_e64 v9, s[0:1], s22, v8
	v_cndmask_b32_e32 v4, v6, v10, vcc
	v_cmp_ne_u32_e32 vcc, 0, v7
	v_cndmask_b32_e32 v6, v8, v9, vcc
	v_cmp_ne_u32_e32 vcc, 0, v4
	v_cndmask_b32_e32 v5, v5, v6, vcc
	s_andn2_saveexec_b64 s[0:1], s[2:3]
	s_cbranch_execz .LBB17_19
.LBB17_21:
	v_cvt_f32_u32_e32 v4, s22
	s_sub_i32 s2, 0, s22
	v_rcp_iflag_f32_e32 v4, v4
	v_mul_f32_e32 v4, 0x4f7ffffe, v4
	v_cvt_u32_f32_e32 v4, v4
	v_mul_lo_u32 v5, s2, v4
	v_mul_hi_u32 v5, v4, v5
	v_add_u32_e32 v4, v4, v5
	v_mul_hi_u32 v4, v3, v4
	v_mul_lo_u32 v4, v4, s22
	v_sub_u32_e32 v4, v3, v4
	v_subrev_u32_e32 v5, s22, v4
	v_cmp_le_u32_e32 vcc, s22, v4
	v_cndmask_b32_e32 v4, v4, v5, vcc
	v_subrev_u32_e32 v5, s22, v4
	v_cmp_le_u32_e32 vcc, s22, v4
	v_cndmask_b32_e32 v5, v4, v5, vcc
	s_or_b64 exec, exec, s[0:1]
	s_cmp_eq_u64 s[10:11], 0
	s_cbranch_scc1 .LBB17_44
.LBB17_22:
	s_mul_i32 s0, s6, s25
	s_mul_hi_u32 s1, s6, s24
	s_add_i32 s0, s1, s0
	s_mul_i32 s7, s7, s24
	s_add_i32 s22, s0, s7
	v_or_b32_e32 v7, s22, v1
	v_mov_b32_e32 v6, 0
	v_cmp_ne_u64_e32 vcc, 0, v[6:7]
	s_mul_i32 s23, s6, s24
                                        ; implicit-def: $vgpr8_vgpr9
	s_and_saveexec_b64 s[0:1], vcc
	s_xor_b64 s[2:3], exec, s[0:1]
	s_cbranch_execz .LBB17_24
; %bb.23:
	s_ashr_i32 s6, s22, 31
	s_add_u32 s0, s23, s6
	s_mov_b32 s7, s6
	s_addc_u32 s1, s22, s6
	s_xor_b64 s[20:21], s[0:1], s[6:7]
	v_cvt_f32_u32_e32 v4, s20
	v_cvt_f32_u32_e32 v6, s21
	s_sub_u32 s7, 0, s20
	s_subb_u32 s25, 0, s21
	v_madmk_f32 v4, v6, 0x4f800000, v4
	v_rcp_f32_e32 v4, v4
	v_mul_f32_e32 v4, 0x5f7ffffc, v4
	v_mul_f32_e32 v6, 0x2f800000, v4
	v_trunc_f32_e32 v6, v6
	v_madmk_f32 v4, v6, 0xcf800000, v4
	v_cvt_u32_f32_e32 v6, v6
	v_cvt_u32_f32_e32 v4, v4
	v_readfirstlane_b32 s28, v6
	v_readfirstlane_b32 s0, v4
	s_mul_i32 s1, s7, s28
	s_mul_hi_u32 s30, s7, s0
	s_mul_i32 s29, s25, s0
	s_add_i32 s1, s30, s1
	s_add_i32 s1, s1, s29
	s_mul_i32 s31, s7, s0
	s_mul_i32 s30, s0, s1
	s_mul_hi_u32 s33, s0, s31
	s_mul_hi_u32 s29, s0, s1
	s_add_u32 s30, s33, s30
	s_addc_u32 s29, 0, s29
	s_mul_hi_u32 s34, s28, s31
	s_mul_i32 s31, s28, s31
	s_add_u32 s30, s30, s31
	s_mul_hi_u32 s33, s28, s1
	s_addc_u32 s29, s29, s34
	s_addc_u32 s30, s33, 0
	s_mul_i32 s1, s28, s1
	s_add_u32 s1, s29, s1
	s_addc_u32 s29, 0, s30
	s_add_u32 s30, s0, s1
	s_cselect_b64 s[0:1], -1, 0
	s_cmp_lg_u64 s[0:1], 0
	s_addc_u32 s28, s28, s29
	s_mul_i32 s0, s7, s28
	s_mul_hi_u32 s1, s7, s30
	s_add_i32 s0, s1, s0
	s_mul_i32 s25, s25, s30
	s_add_i32 s0, s0, s25
	s_mul_i32 s7, s7, s30
	s_mul_hi_u32 s25, s28, s7
	s_mul_i32 s29, s28, s7
	s_mul_i32 s33, s30, s0
	s_mul_hi_u32 s7, s30, s7
	s_mul_hi_u32 s31, s30, s0
	s_add_u32 s7, s7, s33
	s_addc_u32 s31, 0, s31
	s_add_u32 s7, s7, s29
	s_mul_hi_u32 s1, s28, s0
	s_addc_u32 s7, s31, s25
	s_addc_u32 s1, s1, 0
	s_mul_i32 s0, s28, s0
	s_add_u32 s0, s7, s0
	s_addc_u32 s7, 0, s1
	s_add_u32 s25, s30, s0
	s_cselect_b64 s[0:1], -1, 0
	v_ashrrev_i32_e32 v4, 31, v1
	s_cmp_lg_u64 s[0:1], 0
	v_add_co_u32_e32 v6, vcc, v0, v4
	s_addc_u32 s7, s28, s7
	v_xor_b32_e32 v10, v6, v4
	v_mad_u64_u32 v[6:7], s[0:1], v10, s7, 0
	v_mul_hi_u32 v9, v10, s25
	v_addc_co_u32_e32 v8, vcc, v1, v4, vcc
	v_xor_b32_e32 v11, v8, v4
	v_add_co_u32_e32 v12, vcc, v9, v6
	v_addc_co_u32_e32 v13, vcc, 0, v7, vcc
	v_mad_u64_u32 v[6:7], s[0:1], v11, s25, 0
	v_mad_u64_u32 v[8:9], s[0:1], v11, s7, 0
	v_add_co_u32_e32 v6, vcc, v12, v6
	v_addc_co_u32_e32 v6, vcc, v13, v7, vcc
	v_addc_co_u32_e32 v7, vcc, 0, v9, vcc
	v_add_co_u32_e32 v8, vcc, v6, v8
	v_addc_co_u32_e32 v9, vcc, 0, v7, vcc
	v_mul_lo_u32 v12, s21, v8
	v_mul_lo_u32 v13, s20, v9
	v_mad_u64_u32 v[6:7], s[0:1], s20, v8, 0
	v_xor_b32_e32 v4, s6, v4
	v_add3_u32 v7, v7, v13, v12
	v_sub_u32_e32 v12, v11, v7
	v_mov_b32_e32 v13, s21
	v_sub_co_u32_e32 v6, vcc, v10, v6
	v_subb_co_u32_e64 v10, s[0:1], v12, v13, vcc
	v_subrev_co_u32_e64 v12, s[0:1], s20, v6
	v_subbrev_co_u32_e64 v10, s[0:1], 0, v10, s[0:1]
	v_cmp_le_u32_e64 s[0:1], s21, v10
	v_cndmask_b32_e64 v13, 0, -1, s[0:1]
	v_cmp_le_u32_e64 s[0:1], s20, v12
	v_cndmask_b32_e64 v12, 0, -1, s[0:1]
	v_cmp_eq_u32_e64 s[0:1], s21, v10
	v_cndmask_b32_e64 v10, v13, v12, s[0:1]
	v_add_co_u32_e64 v12, s[0:1], 2, v8
	v_subb_co_u32_e32 v7, vcc, v11, v7, vcc
	v_addc_co_u32_e64 v13, s[0:1], 0, v9, s[0:1]
	v_cmp_le_u32_e32 vcc, s21, v7
	v_add_co_u32_e64 v14, s[0:1], 1, v8
	v_cndmask_b32_e64 v11, 0, -1, vcc
	v_cmp_le_u32_e32 vcc, s20, v6
	v_addc_co_u32_e64 v15, s[0:1], 0, v9, s[0:1]
	v_cndmask_b32_e64 v6, 0, -1, vcc
	v_cmp_eq_u32_e32 vcc, s21, v7
	v_cmp_ne_u32_e64 s[0:1], 0, v10
	v_cndmask_b32_e32 v6, v11, v6, vcc
	v_cmp_ne_u32_e32 vcc, 0, v6
	v_cndmask_b32_e64 v7, v14, v12, s[0:1]
	v_cndmask_b32_e64 v10, v15, v13, s[0:1]
	v_cndmask_b32_e32 v7, v8, v7, vcc
	v_cndmask_b32_e32 v6, v9, v10, vcc
	v_xor_b32_e32 v7, v7, v4
	v_xor_b32_e32 v6, v6, v4
	v_sub_co_u32_e32 v8, vcc, v7, v4
	v_subb_co_u32_e32 v9, vcc, v6, v4, vcc
.LBB17_24:
	s_andn2_saveexec_b64 s[0:1], s[2:3]
	s_cbranch_execz .LBB17_26
; %bb.25:
	v_cvt_f32_u32_e32 v4, s23
	s_sub_i32 s2, 0, s23
	v_mov_b32_e32 v9, 0
	v_rcp_iflag_f32_e32 v4, v4
	v_mul_f32_e32 v4, 0x4f7ffffe, v4
	v_cvt_u32_f32_e32 v4, v4
	v_mul_lo_u32 v6, s2, v4
	v_mul_hi_u32 v6, v4, v6
	v_add_u32_e32 v4, v4, v6
	v_mul_hi_u32 v4, v0, v4
	v_mul_lo_u32 v6, v4, s23
	v_add_u32_e32 v7, 1, v4
	v_sub_u32_e32 v6, v0, v6
	v_subrev_u32_e32 v8, s23, v6
	v_cmp_le_u32_e32 vcc, s23, v6
	v_cndmask_b32_e32 v6, v6, v8, vcc
	v_cndmask_b32_e32 v4, v4, v7, vcc
	v_add_u32_e32 v7, 1, v4
	v_cmp_le_u32_e32 vcc, s23, v6
	v_cndmask_b32_e32 v8, v4, v7, vcc
.LBB17_26:
	s_or_b64 exec, exec, s[0:1]
	v_or_b32_e32 v7, s13, v9
	v_mov_b32_e32 v6, 0
	v_cmp_ne_u64_e32 vcc, 0, v[6:7]
                                        ; implicit-def: $vgpr6_vgpr7
	s_and_saveexec_b64 s[0:1], vcc
	s_xor_b64 s[2:3], exec, s[0:1]
	s_cbranch_execz .LBB17_28
; %bb.27:
	v_cvt_f32_u32_e32 v4, s12
	v_cvt_f32_u32_e32 v6, s13
	s_sub_u32 s6, 0, s12
	s_subb_u32 s7, 0, s13
	v_madmk_f32 v4, v6, 0x4f800000, v4
	v_rcp_f32_e32 v4, v4
	v_mul_f32_e32 v4, 0x5f7ffffc, v4
	v_mul_f32_e32 v6, 0x2f800000, v4
	v_trunc_f32_e32 v6, v6
	v_madmk_f32 v4, v6, 0xcf800000, v4
	v_cvt_u32_f32_e32 v6, v6
	v_cvt_u32_f32_e32 v4, v4
	v_readfirstlane_b32 s20, v6
	v_readfirstlane_b32 s0, v4
	s_mul_i32 s1, s6, s20
	s_mul_hi_u32 s25, s6, s0
	s_mul_i32 s21, s7, s0
	s_add_i32 s1, s25, s1
	s_mul_i32 s28, s6, s0
	s_add_i32 s1, s1, s21
	s_mul_i32 s25, s0, s1
	s_mul_hi_u32 s29, s0, s28
	s_mul_hi_u32 s21, s0, s1
	s_add_u32 s25, s29, s25
	s_addc_u32 s21, 0, s21
	s_mul_hi_u32 s30, s20, s28
	s_mul_i32 s28, s20, s28
	s_add_u32 s25, s25, s28
	s_mul_hi_u32 s29, s20, s1
	s_addc_u32 s21, s21, s30
	s_addc_u32 s25, s29, 0
	s_mul_i32 s1, s20, s1
	s_add_u32 s1, s21, s1
	s_addc_u32 s21, 0, s25
	s_add_u32 s25, s0, s1
	s_cselect_b64 s[0:1], -1, 0
	s_cmp_lg_u64 s[0:1], 0
	s_addc_u32 s20, s20, s21
	s_mul_i32 s0, s6, s20
	s_mul_hi_u32 s1, s6, s25
	s_add_i32 s0, s1, s0
	s_mul_i32 s7, s7, s25
	s_add_i32 s0, s0, s7
	s_mul_i32 s6, s6, s25
	s_mul_hi_u32 s7, s20, s6
	s_mul_i32 s21, s20, s6
	s_mul_i32 s29, s25, s0
	s_mul_hi_u32 s6, s25, s6
	s_mul_hi_u32 s28, s25, s0
	s_add_u32 s6, s6, s29
	s_addc_u32 s28, 0, s28
	s_add_u32 s6, s6, s21
	s_mul_hi_u32 s1, s20, s0
	s_addc_u32 s6, s28, s7
	s_addc_u32 s1, s1, 0
	s_mul_i32 s0, s20, s0
	s_add_u32 s0, s6, s0
	s_addc_u32 s6, 0, s1
	s_add_u32 s7, s25, s0
	s_cselect_b64 s[0:1], -1, 0
	s_cmp_lg_u64 s[0:1], 0
	s_addc_u32 s6, s20, s6
	v_mad_u64_u32 v[6:7], s[0:1], v8, s6, 0
	v_mul_hi_u32 v4, v8, s7
	v_mad_u64_u32 v[10:11], s[0:1], v9, s6, 0
	v_add_co_u32_e32 v4, vcc, v4, v6
	v_addc_co_u32_e32 v12, vcc, 0, v7, vcc
	v_mad_u64_u32 v[6:7], s[0:1], v9, s7, 0
	v_add_co_u32_e32 v4, vcc, v4, v6
	v_addc_co_u32_e32 v4, vcc, v12, v7, vcc
	v_addc_co_u32_e32 v6, vcc, 0, v11, vcc
	v_add_co_u32_e32 v4, vcc, v4, v10
	v_addc_co_u32_e32 v6, vcc, 0, v6, vcc
	v_mul_lo_u32 v10, s13, v4
	v_mul_lo_u32 v11, s12, v6
	v_mad_u64_u32 v[6:7], s[0:1], s12, v4, 0
	v_add3_u32 v4, v7, v11, v10
	v_sub_u32_e32 v7, v9, v4
	v_mov_b32_e32 v10, s13
	v_sub_co_u32_e32 v6, vcc, v8, v6
	v_subb_co_u32_e64 v7, s[0:1], v7, v10, vcc
	v_subrev_co_u32_e64 v8, s[0:1], s12, v6
	v_subbrev_co_u32_e64 v7, s[0:1], 0, v7, s[0:1]
	v_cmp_le_u32_e64 s[0:1], s13, v7
	v_subb_co_u32_e32 v4, vcc, v9, v4, vcc
	v_cndmask_b32_e64 v10, 0, -1, s[0:1]
	v_cmp_le_u32_e64 s[0:1], s12, v8
	v_cmp_le_u32_e32 vcc, s13, v4
	v_cndmask_b32_e64 v11, 0, -1, s[0:1]
	v_cmp_eq_u32_e64 s[0:1], s13, v7
	v_cndmask_b32_e64 v9, 0, -1, vcc
	v_cmp_le_u32_e32 vcc, s12, v6
	v_cndmask_b32_e64 v7, v10, v11, s[0:1]
	v_cndmask_b32_e64 v11, 0, -1, vcc
	v_cmp_eq_u32_e32 vcc, s13, v4
	v_subrev_co_u32_e64 v10, s[0:1], s12, v8
	v_cndmask_b32_e32 v4, v9, v11, vcc
	v_cmp_ne_u32_e32 vcc, 0, v7
	v_cndmask_b32_e32 v7, v8, v10, vcc
	v_cmp_ne_u32_e32 vcc, 0, v4
	v_cndmask_b32_e32 v6, v6, v7, vcc
                                        ; implicit-def: $vgpr8_vgpr9
.LBB17_28:
	s_andn2_saveexec_b64 s[0:1], s[2:3]
	s_cbranch_execz .LBB17_30
; %bb.29:
	v_cvt_f32_u32_e32 v4, s12
	s_sub_i32 s2, 0, s12
	v_rcp_iflag_f32_e32 v4, v4
	v_mul_f32_e32 v4, 0x4f7ffffe, v4
	v_cvt_u32_f32_e32 v4, v4
	v_mul_lo_u32 v6, s2, v4
	v_mul_hi_u32 v6, v4, v6
	v_add_u32_e32 v4, v4, v6
	v_mul_hi_u32 v4, v8, v4
	v_mul_lo_u32 v4, v4, s12
	v_sub_u32_e32 v4, v8, v4
	v_subrev_u32_e32 v6, s12, v4
	v_cmp_le_u32_e32 vcc, s12, v4
	v_cndmask_b32_e32 v4, v4, v6, vcc
	v_subrev_u32_e32 v6, s12, v4
	v_cmp_le_u32_e32 vcc, s12, v4
	v_cndmask_b32_e32 v6, v4, v6, vcc
.LBB17_30:
	s_or_b64 exec, exec, s[0:1]
	v_mul_lo_u32 v3, v3, s24
	s_mul_i32 s0, s18, s17
	s_mul_hi_u32 s1, s18, s16
	s_add_i32 s0, s1, s0
	s_mul_i32 s1, s19, s16
	s_add_i32 s30, s0, s1
	s_load_dwordx4 s[0:3], s[4:5], 0x50
	v_sub_u32_e32 v3, v0, v3
	v_cvt_f32_i32_e32 v8, v3
	v_cvt_f32_i32_e32 v4, v5
	v_add_u32_e32 v5, 1, v5
	v_add_u32_e32 v3, 1, v3
	s_waitcnt lgkmcnt(0)
	v_fma_f32 v8, s2, v8, -0.5
	v_ceil_f32_e32 v8, v8
	v_cvt_i32_f32_e32 v12, v8
	v_cvt_f32_i32_e32 v8, v2
	v_add_u32_e32 v2, 1, v2
	v_cvt_f32_i32_e32 v5, v5
	v_cvt_f32_i32_e32 v3, v3
	;; [unrolled: 1-line block ×3, first 2 shown]
	v_fma_f32 v4, s1, v4, -0.5
	v_ceil_f32_e32 v4, v4
	v_cvt_i32_f32_e32 v7, v4
	v_fma_f32 v4, s1, v5, -0.5
	v_fma_f32 v3, s2, v3, -0.5
	v_fma_f32 v2, s0, v2, -0.5
	v_ceil_f32_e32 v4, v4
	v_ceil_f32_e32 v3, v3
	v_fma_f32 v8, s0, v8, -0.5
	v_ceil_f32_e32 v2, v2
	v_cvt_i32_f32_e32 v5, v4
	v_cvt_i32_f32_e32 v3, v3
	v_ceil_f32_e32 v8, v8
	v_cvt_i32_f32_e32 v2, v2
	v_cvt_i32_f32_e32 v13, v8
	s_mul_i32 s31, s18, s16
	s_mul_i32 s0, s31, s15
	s_mul_hi_u32 s1, s31, s14
	s_mul_i32 s6, s23, s13
	s_mul_hi_u32 s7, s23, s12
	v_min_i32_e32 v5, s16, v5
	v_min_i32_e32 v9, s18, v3
	;; [unrolled: 1-line block ×3, first 2 shown]
	s_add_i32 s0, s1, s0
	s_mul_i32 s1, s30, s14
	s_add_i32 s6, s7, s6
	s_mul_i32 s7, s22, s12
	v_min_i32_e32 v4, s16, v7
	v_min_i32_e32 v8, s18, v12
	;; [unrolled: 1-line block ×3, first 2 shown]
	s_add_i32 s33, s0, s1
	s_mul_i32 s34, s31, s14
	v_cmp_gt_i32_e64 s[0:1], v11, v13
	v_cmp_gt_i32_e64 s[2:3], v5, v7
	v_cmp_gt_i32_e64 s[4:5], v9, v12
	v_ashrrev_i32_e32 v7, 31, v6
	s_add_i32 s35, s6, s7
	s_mul_i32 s36, s23, s12
	s_mov_b64 s[14:15], 0
	s_branch .LBB17_33
.LBB17_31:                              ;   in Loop: Header=BB17_33 Depth=1
	s_or_b64 exec, exec, s[16:17]
	v_cvt_f16_f32_e32 v2, v12
.LBB17_32:                              ;   in Loop: Header=BB17_33 Depth=1
	s_or_b64 exec, exec, s[6:7]
	v_lshlrev_b64 v[12:13], 1, v[0:1]
	v_mov_b32_e32 v3, s27
	v_add_co_u32_e32 v12, vcc, s26, v12
	v_addc_co_u32_e32 v13, vcc, v3, v13, vcc
	s_add_u32 s14, s14, 1
	global_store_short v[12:13], v2, off
	s_addc_u32 s15, s15, 0
	v_mov_b32_e32 v2, s14
	v_mov_b32_e32 v3, s15
	v_cmp_le_u64_e32 vcc, s[10:11], v[2:3]
	v_mov_b32_e32 v12, s35
	v_add_co_u32_e64 v0, s[6:7], s36, v0
	v_addc_co_u32_e64 v1, s[6:7], v1, v12, s[6:7]
	s_cbranch_vccnz .LBB17_44
.LBB17_33:                              ; =>This Loop Header: Depth=1
                                        ;     Child Loop BB17_37 Depth 2
                                        ;       Child Loop BB17_40 Depth 3
                                        ;         Child Loop BB17_42 Depth 4
	v_mov_b32_e32 v2, 0
	s_and_saveexec_b64 s[6:7], s[0:1]
	s_cbranch_execz .LBB17_32
; %bb.34:                               ;   in Loop: Header=BB17_33 Depth=1
	v_mov_b32_e32 v2, s12
	v_mad_u64_u32 v[2:3], s[16:17], s14, v2, v[6:7]
	s_mul_i32 s16, s15, s12
	s_mul_i32 s17, s14, s13
	s_add_i32 s17, s17, s16
	v_add_u32_e32 v3, s17, v3
	v_mul_lo_u32 v12, s34, v3
	v_mul_lo_u32 v13, s33, v2
	v_mad_u64_u32 v[2:3], s[16:17], s34, v2, 0
	s_mov_b64 s[16:17], 0
	v_mov_b32_e32 v15, v10
	v_add3_u32 v3, v3, v12, v13
	v_lshlrev_b64 v[2:3], 1, v[2:3]
	v_mov_b32_e32 v12, s9
	v_add_co_u32_e32 v13, vcc, s8, v2
	v_addc_co_u32_e32 v14, vcc, v12, v3, vcc
	v_mov_b32_e32 v12, 0
	s_branch .LBB17_37
.LBB17_35:                              ;   in Loop: Header=BB17_37 Depth=2
	s_or_b64 exec, exec, s[22:23]
.LBB17_36:                              ;   in Loop: Header=BB17_37 Depth=2
	s_or_b64 exec, exec, s[20:21]
	v_add_u32_e32 v15, 1, v15
	v_cmp_ge_i32_e32 vcc, v15, v11
	s_or_b64 s[16:17], vcc, s[16:17]
	s_andn2_b64 exec, exec, s[16:17]
	s_cbranch_execz .LBB17_31
.LBB17_37:                              ;   Parent Loop BB17_33 Depth=1
                                        ; =>  This Loop Header: Depth=2
                                        ;       Child Loop BB17_40 Depth 3
                                        ;         Child Loop BB17_42 Depth 4
	s_and_saveexec_b64 s[20:21], s[2:3]
	s_cbranch_execz .LBB17_36
; %bb.38:                               ;   in Loop: Header=BB17_37 Depth=2
	v_ashrrev_i32_e32 v16, 31, v15
	v_mul_lo_u32 v17, s30, v15
	v_mad_u64_u32 v[2:3], s[22:23], s31, v15, 0
	v_mul_lo_u32 v16, s31, v16
	s_mov_b64 s[22:23], 0
	v_mov_b32_e32 v18, v4
	v_add3_u32 v3, v3, v16, v17
	v_lshlrev_b64 v[2:3], 1, v[2:3]
	v_add_co_u32_e32 v16, vcc, v13, v2
	v_addc_co_u32_e32 v17, vcc, v14, v3, vcc
	s_branch .LBB17_40
.LBB17_39:                              ;   in Loop: Header=BB17_40 Depth=3
	s_or_b64 exec, exec, s[24:25]
	v_add_u32_e32 v18, 1, v18
	v_cmp_ge_i32_e32 vcc, v18, v5
	s_or_b64 s[22:23], vcc, s[22:23]
	s_andn2_b64 exec, exec, s[22:23]
	s_cbranch_execz .LBB17_35
.LBB17_40:                              ;   Parent Loop BB17_33 Depth=1
                                        ;     Parent Loop BB17_37 Depth=2
                                        ; =>    This Loop Header: Depth=3
                                        ;         Child Loop BB17_42 Depth 4
	s_and_saveexec_b64 s[24:25], s[4:5]
	s_cbranch_execz .LBB17_39
; %bb.41:                               ;   in Loop: Header=BB17_40 Depth=3
	v_ashrrev_i32_e32 v19, 31, v18
	v_mul_lo_u32 v20, s19, v18
	v_mad_u64_u32 v[2:3], s[28:29], s18, v18, 0
	v_mul_lo_u32 v19, s18, v19
	s_mov_b64 s[28:29], 0
	v_add3_u32 v3, v3, v19, v20
	v_lshlrev_b64 v[2:3], 1, v[2:3]
	v_add_co_u32_e32 v19, vcc, v16, v2
	v_addc_co_u32_e32 v20, vcc, v17, v3, vcc
	v_mov_b32_e32 v2, v8
.LBB17_42:                              ;   Parent Loop BB17_33 Depth=1
                                        ;     Parent Loop BB17_37 Depth=2
                                        ;       Parent Loop BB17_40 Depth=3
                                        ; =>      This Inner Loop Header: Depth=4
	v_ashrrev_i32_e32 v3, 31, v2
	v_lshlrev_b64 v[21:22], 1, v[2:3]
	v_add_u32_e32 v2, 1, v2
	v_add_co_u32_e32 v21, vcc, v19, v21
	v_addc_co_u32_e32 v22, vcc, v20, v22, vcc
	global_load_ushort v3, v[21:22], off
	v_cmp_ge_i32_e32 vcc, v2, v9
	s_or_b64 s[28:29], vcc, s[28:29]
	s_waitcnt vmcnt(0)
	v_cvt_f32_f16_e32 v3, v3
	v_add_f32_e32 v12, v12, v3
	s_andn2_b64 exec, exec, s[28:29]
	s_cbranch_execnz .LBB17_42
; %bb.43:                               ;   in Loop: Header=BB17_40 Depth=3
	s_or_b64 exec, exec, s[28:29]
	s_branch .LBB17_39
.LBB17_44:
	s_endpgm
	.section	.rodata,"a",@progbits
	.p2align	6, 0x0
	.amdhsa_kernel _ZN2at6native12_GLOBAL__N_137upsample_nearest3d_backward_out_frameIN3c104HalfEfXadL_ZNS0_46nearest_neighbor_exact_bw_compute_source_indexEfiiEEEEvPKT_mmmmmmmmPS5_fff
		.amdhsa_group_segment_fixed_size 0
		.amdhsa_private_segment_fixed_size 0
		.amdhsa_kernarg_size 352
		.amdhsa_user_sgpr_count 6
		.amdhsa_user_sgpr_private_segment_buffer 1
		.amdhsa_user_sgpr_dispatch_ptr 0
		.amdhsa_user_sgpr_queue_ptr 0
		.amdhsa_user_sgpr_kernarg_segment_ptr 1
		.amdhsa_user_sgpr_dispatch_id 0
		.amdhsa_user_sgpr_flat_scratch_init 0
		.amdhsa_user_sgpr_private_segment_size 0
		.amdhsa_uses_dynamic_stack 0
		.amdhsa_system_sgpr_private_segment_wavefront_offset 0
		.amdhsa_system_sgpr_workgroup_id_x 1
		.amdhsa_system_sgpr_workgroup_id_y 0
		.amdhsa_system_sgpr_workgroup_id_z 0
		.amdhsa_system_sgpr_workgroup_info 0
		.amdhsa_system_vgpr_workitem_id 0
		.amdhsa_next_free_vgpr 23
		.amdhsa_next_free_sgpr 37
		.amdhsa_reserve_vcc 1
		.amdhsa_reserve_flat_scratch 0
		.amdhsa_float_round_mode_32 0
		.amdhsa_float_round_mode_16_64 0
		.amdhsa_float_denorm_mode_32 3
		.amdhsa_float_denorm_mode_16_64 3
		.amdhsa_dx10_clamp 1
		.amdhsa_ieee_mode 1
		.amdhsa_fp16_overflow 0
		.amdhsa_exception_fp_ieee_invalid_op 0
		.amdhsa_exception_fp_denorm_src 0
		.amdhsa_exception_fp_ieee_div_zero 0
		.amdhsa_exception_fp_ieee_overflow 0
		.amdhsa_exception_fp_ieee_underflow 0
		.amdhsa_exception_fp_ieee_inexact 0
		.amdhsa_exception_int_div_zero 0
	.end_amdhsa_kernel
	.section	.text._ZN2at6native12_GLOBAL__N_137upsample_nearest3d_backward_out_frameIN3c104HalfEfXadL_ZNS0_46nearest_neighbor_exact_bw_compute_source_indexEfiiEEEEvPKT_mmmmmmmmPS5_fff,"axG",@progbits,_ZN2at6native12_GLOBAL__N_137upsample_nearest3d_backward_out_frameIN3c104HalfEfXadL_ZNS0_46nearest_neighbor_exact_bw_compute_source_indexEfiiEEEEvPKT_mmmmmmmmPS5_fff,comdat
.Lfunc_end17:
	.size	_ZN2at6native12_GLOBAL__N_137upsample_nearest3d_backward_out_frameIN3c104HalfEfXadL_ZNS0_46nearest_neighbor_exact_bw_compute_source_indexEfiiEEEEvPKT_mmmmmmmmPS5_fff, .Lfunc_end17-_ZN2at6native12_GLOBAL__N_137upsample_nearest3d_backward_out_frameIN3c104HalfEfXadL_ZNS0_46nearest_neighbor_exact_bw_compute_source_indexEfiiEEEEvPKT_mmmmmmmmPS5_fff
                                        ; -- End function
	.set _ZN2at6native12_GLOBAL__N_137upsample_nearest3d_backward_out_frameIN3c104HalfEfXadL_ZNS0_46nearest_neighbor_exact_bw_compute_source_indexEfiiEEEEvPKT_mmmmmmmmPS5_fff.num_vgpr, 23
	.set _ZN2at6native12_GLOBAL__N_137upsample_nearest3d_backward_out_frameIN3c104HalfEfXadL_ZNS0_46nearest_neighbor_exact_bw_compute_source_indexEfiiEEEEvPKT_mmmmmmmmPS5_fff.num_agpr, 0
	.set _ZN2at6native12_GLOBAL__N_137upsample_nearest3d_backward_out_frameIN3c104HalfEfXadL_ZNS0_46nearest_neighbor_exact_bw_compute_source_indexEfiiEEEEvPKT_mmmmmmmmPS5_fff.numbered_sgpr, 37
	.set _ZN2at6native12_GLOBAL__N_137upsample_nearest3d_backward_out_frameIN3c104HalfEfXadL_ZNS0_46nearest_neighbor_exact_bw_compute_source_indexEfiiEEEEvPKT_mmmmmmmmPS5_fff.num_named_barrier, 0
	.set _ZN2at6native12_GLOBAL__N_137upsample_nearest3d_backward_out_frameIN3c104HalfEfXadL_ZNS0_46nearest_neighbor_exact_bw_compute_source_indexEfiiEEEEvPKT_mmmmmmmmPS5_fff.private_seg_size, 0
	.set _ZN2at6native12_GLOBAL__N_137upsample_nearest3d_backward_out_frameIN3c104HalfEfXadL_ZNS0_46nearest_neighbor_exact_bw_compute_source_indexEfiiEEEEvPKT_mmmmmmmmPS5_fff.uses_vcc, 1
	.set _ZN2at6native12_GLOBAL__N_137upsample_nearest3d_backward_out_frameIN3c104HalfEfXadL_ZNS0_46nearest_neighbor_exact_bw_compute_source_indexEfiiEEEEvPKT_mmmmmmmmPS5_fff.uses_flat_scratch, 0
	.set _ZN2at6native12_GLOBAL__N_137upsample_nearest3d_backward_out_frameIN3c104HalfEfXadL_ZNS0_46nearest_neighbor_exact_bw_compute_source_indexEfiiEEEEvPKT_mmmmmmmmPS5_fff.has_dyn_sized_stack, 0
	.set _ZN2at6native12_GLOBAL__N_137upsample_nearest3d_backward_out_frameIN3c104HalfEfXadL_ZNS0_46nearest_neighbor_exact_bw_compute_source_indexEfiiEEEEvPKT_mmmmmmmmPS5_fff.has_recursion, 0
	.set _ZN2at6native12_GLOBAL__N_137upsample_nearest3d_backward_out_frameIN3c104HalfEfXadL_ZNS0_46nearest_neighbor_exact_bw_compute_source_indexEfiiEEEEvPKT_mmmmmmmmPS5_fff.has_indirect_call, 0
	.section	.AMDGPU.csdata,"",@progbits
; Kernel info:
; codeLenInByte = 5644
; TotalNumSgprs: 41
; NumVgprs: 23
; ScratchSize: 0
; MemoryBound: 0
; FloatMode: 240
; IeeeMode: 1
; LDSByteSize: 0 bytes/workgroup (compile time only)
; SGPRBlocks: 5
; VGPRBlocks: 5
; NumSGPRsForWavesPerEU: 41
; NumVGPRsForWavesPerEU: 23
; Occupancy: 10
; WaveLimiterHint : 0
; COMPUTE_PGM_RSRC2:SCRATCH_EN: 0
; COMPUTE_PGM_RSRC2:USER_SGPR: 6
; COMPUTE_PGM_RSRC2:TRAP_HANDLER: 0
; COMPUTE_PGM_RSRC2:TGID_X_EN: 1
; COMPUTE_PGM_RSRC2:TGID_Y_EN: 0
; COMPUTE_PGM_RSRC2:TGID_Z_EN: 0
; COMPUTE_PGM_RSRC2:TIDIG_COMP_CNT: 0
	.section	.text._ZN2at6native12_GLOBAL__N_137upsample_nearest3d_backward_out_frameIN3c108BFloat16EfXadL_ZNS0_46nearest_neighbor_exact_bw_compute_source_indexEfiiEEEEvPKT_mmmmmmmmPS5_fff,"axG",@progbits,_ZN2at6native12_GLOBAL__N_137upsample_nearest3d_backward_out_frameIN3c108BFloat16EfXadL_ZNS0_46nearest_neighbor_exact_bw_compute_source_indexEfiiEEEEvPKT_mmmmmmmmPS5_fff,comdat
	.globl	_ZN2at6native12_GLOBAL__N_137upsample_nearest3d_backward_out_frameIN3c108BFloat16EfXadL_ZNS0_46nearest_neighbor_exact_bw_compute_source_indexEfiiEEEEvPKT_mmmmmmmmPS5_fff ; -- Begin function _ZN2at6native12_GLOBAL__N_137upsample_nearest3d_backward_out_frameIN3c108BFloat16EfXadL_ZNS0_46nearest_neighbor_exact_bw_compute_source_indexEfiiEEEEvPKT_mmmmmmmmPS5_fff
	.p2align	8
	.type	_ZN2at6native12_GLOBAL__N_137upsample_nearest3d_backward_out_frameIN3c108BFloat16EfXadL_ZNS0_46nearest_neighbor_exact_bw_compute_source_indexEfiiEEEEvPKT_mmmmmmmmPS5_fff,@function
_ZN2at6native12_GLOBAL__N_137upsample_nearest3d_backward_out_frameIN3c108BFloat16EfXadL_ZNS0_46nearest_neighbor_exact_bw_compute_source_indexEfiiEEEEvPKT_mmmmmmmmPS5_fff: ; @_ZN2at6native12_GLOBAL__N_137upsample_nearest3d_backward_out_frameIN3c108BFloat16EfXadL_ZNS0_46nearest_neighbor_exact_bw_compute_source_indexEfiiEEEEvPKT_mmmmmmmmPS5_fff
; %bb.0:
	s_load_dword s0, s[4:5], 0x6c
	s_load_dwordx4 s[24:27], s[4:5], 0x40
	s_load_dwordx16 s[8:23], s[4:5], 0x0
	v_mov_b32_e32 v2, 0
	v_mov_b32_e32 v1, v2
	s_waitcnt lgkmcnt(0)
	s_and_b32 s0, s0, 0xffff
	v_mov_b32_e32 v3, s6
	v_mad_u64_u32 v[0:1], s[0:1], s0, v3, v[0:1]
	s_mul_i32 s0, s22, s21
	s_mul_hi_u32 s1, s22, s20
	s_add_i32 s7, s1, s0
	s_mul_i32 s0, s23, s20
	s_mul_i32 s6, s22, s20
	s_add_i32 s7, s7, s0
	s_mul_i32 s0, s6, s13
	s_mul_hi_u32 s1, s6, s12
	s_add_i32 s0, s1, s0
	s_mul_i32 s1, s7, s12
	s_mul_i32 s2, s6, s12
	s_add_i32 s0, s0, s1
	s_mul_i32 s1, s2, s25
	s_mul_hi_u32 s3, s2, s24
	s_mul_i32 s0, s0, s24
	s_add_i32 s1, s3, s1
	s_add_i32 s1, s1, s0
	s_mul_i32 s0, s2, s24
	v_cmp_gt_u64_e32 vcc, s[0:1], v[0:1]
	s_and_saveexec_b64 s[0:1], vcc
	s_cbranch_execz .LBB18_44
; %bb.1:
	v_or_b32_e32 v3, s23, v1
	v_cmp_ne_u64_e32 vcc, 0, v[2:3]
                                        ; implicit-def: $vgpr2_vgpr3
	s_and_saveexec_b64 s[0:1], vcc
	s_xor_b64 s[2:3], exec, s[0:1]
	s_cbranch_execz .LBB18_3
; %bb.2:
	v_cvt_f32_u32_e32 v2, s22
	v_cvt_f32_u32_e32 v3, s23
	s_sub_u32 s28, 0, s22
	s_subb_u32 s29, 0, s23
	v_madmk_f32 v2, v3, 0x4f800000, v2
	v_rcp_f32_e32 v2, v2
	v_mul_f32_e32 v2, 0x5f7ffffc, v2
	v_mul_f32_e32 v3, 0x2f800000, v2
	v_trunc_f32_e32 v3, v3
	v_madmk_f32 v2, v3, 0xcf800000, v2
	v_cvt_u32_f32_e32 v3, v3
	v_cvt_u32_f32_e32 v2, v2
	v_readfirstlane_b32 s30, v3
	v_readfirstlane_b32 s0, v2
	s_mul_i32 s1, s28, s30
	s_mul_hi_u32 s33, s28, s0
	s_mul_i32 s31, s29, s0
	s_add_i32 s1, s33, s1
	s_mul_i32 s34, s28, s0
	s_add_i32 s1, s1, s31
	s_mul_i32 s33, s0, s1
	s_mul_hi_u32 s35, s0, s34
	s_mul_hi_u32 s31, s0, s1
	s_add_u32 s33, s35, s33
	s_addc_u32 s31, 0, s31
	s_mul_hi_u32 s36, s30, s34
	s_mul_i32 s34, s30, s34
	s_add_u32 s33, s33, s34
	s_mul_hi_u32 s35, s30, s1
	s_addc_u32 s31, s31, s36
	s_addc_u32 s33, s35, 0
	s_mul_i32 s1, s30, s1
	s_add_u32 s1, s31, s1
	s_addc_u32 s31, 0, s33
	s_add_u32 s33, s0, s1
	s_cselect_b64 s[0:1], -1, 0
	s_cmp_lg_u64 s[0:1], 0
	s_addc_u32 s30, s30, s31
	s_mul_i32 s0, s28, s30
	s_mul_hi_u32 s1, s28, s33
	s_add_i32 s0, s1, s0
	s_mul_i32 s29, s29, s33
	s_add_i32 s0, s0, s29
	s_mul_i32 s28, s28, s33
	s_mul_hi_u32 s29, s30, s28
	s_mul_i32 s31, s30, s28
	s_mul_i32 s35, s33, s0
	s_mul_hi_u32 s28, s33, s28
	s_mul_hi_u32 s34, s33, s0
	s_add_u32 s28, s28, s35
	s_addc_u32 s34, 0, s34
	s_add_u32 s28, s28, s31
	s_mul_hi_u32 s1, s30, s0
	s_addc_u32 s28, s34, s29
	s_addc_u32 s1, s1, 0
	s_mul_i32 s0, s30, s0
	s_add_u32 s0, s28, s0
	s_addc_u32 s28, 0, s1
	s_add_u32 s29, s33, s0
	s_cselect_b64 s[0:1], -1, 0
	s_cmp_lg_u64 s[0:1], 0
	s_addc_u32 s28, s30, s28
	v_mad_u64_u32 v[2:3], s[0:1], v0, s28, 0
	v_mul_hi_u32 v4, v0, s29
	v_add_co_u32_e32 v6, vcc, v4, v2
	v_addc_co_u32_e32 v7, vcc, 0, v3, vcc
	v_mad_u64_u32 v[2:3], s[0:1], v1, s29, 0
	v_mad_u64_u32 v[4:5], s[0:1], v1, s28, 0
	v_add_co_u32_e32 v2, vcc, v6, v2
	v_addc_co_u32_e32 v2, vcc, v7, v3, vcc
	v_addc_co_u32_e32 v3, vcc, 0, v5, vcc
	v_add_co_u32_e32 v4, vcc, v2, v4
	v_addc_co_u32_e32 v5, vcc, 0, v3, vcc
	v_mul_lo_u32 v6, s23, v4
	v_mul_lo_u32 v7, s22, v5
	v_mad_u64_u32 v[2:3], s[0:1], s22, v4, 0
	v_add3_u32 v3, v3, v7, v6
	v_sub_u32_e32 v6, v1, v3
	v_mov_b32_e32 v7, s23
	v_sub_co_u32_e32 v2, vcc, v0, v2
	v_subb_co_u32_e64 v6, s[0:1], v6, v7, vcc
	v_subrev_co_u32_e64 v7, s[0:1], s22, v2
	v_subbrev_co_u32_e64 v6, s[0:1], 0, v6, s[0:1]
	v_cmp_le_u32_e64 s[0:1], s23, v6
	v_cndmask_b32_e64 v8, 0, -1, s[0:1]
	v_cmp_le_u32_e64 s[0:1], s22, v7
	v_cndmask_b32_e64 v7, 0, -1, s[0:1]
	v_cmp_eq_u32_e64 s[0:1], s23, v6
	v_cndmask_b32_e64 v6, v8, v7, s[0:1]
	v_add_co_u32_e64 v7, s[0:1], 2, v4
	v_addc_co_u32_e64 v8, s[0:1], 0, v5, s[0:1]
	v_add_co_u32_e64 v9, s[0:1], 1, v4
	v_addc_co_u32_e64 v10, s[0:1], 0, v5, s[0:1]
	v_subb_co_u32_e32 v3, vcc, v1, v3, vcc
	v_cmp_ne_u32_e64 s[0:1], 0, v6
	v_cmp_le_u32_e32 vcc, s23, v3
	v_cndmask_b32_e64 v6, v10, v8, s[0:1]
	v_cndmask_b32_e64 v8, 0, -1, vcc
	v_cmp_le_u32_e32 vcc, s22, v2
	v_cndmask_b32_e64 v2, 0, -1, vcc
	v_cmp_eq_u32_e32 vcc, s23, v3
	v_cndmask_b32_e32 v2, v8, v2, vcc
	v_cmp_ne_u32_e32 vcc, 0, v2
	v_cndmask_b32_e64 v2, v9, v7, s[0:1]
	v_cndmask_b32_e32 v3, v5, v6, vcc
	v_cndmask_b32_e32 v2, v4, v2, vcc
.LBB18_3:
	s_andn2_saveexec_b64 s[0:1], s[2:3]
	s_cbranch_execz .LBB18_5
; %bb.4:
	v_cvt_f32_u32_e32 v2, s22
	s_sub_i32 s2, 0, s22
	v_rcp_iflag_f32_e32 v2, v2
	v_mul_f32_e32 v2, 0x4f7ffffe, v2
	v_cvt_u32_f32_e32 v2, v2
	v_mul_lo_u32 v3, s2, v2
	v_mul_hi_u32 v3, v2, v3
	v_add_u32_e32 v2, v2, v3
	v_mul_hi_u32 v2, v0, v2
	v_mul_lo_u32 v3, v2, s22
	v_add_u32_e32 v4, 1, v2
	v_sub_u32_e32 v3, v0, v3
	v_subrev_u32_e32 v5, s22, v3
	v_cmp_le_u32_e32 vcc, s22, v3
	v_cndmask_b32_e32 v3, v3, v5, vcc
	v_cndmask_b32_e32 v2, v2, v4, vcc
	v_add_u32_e32 v4, 1, v2
	v_cmp_le_u32_e32 vcc, s22, v3
	v_cndmask_b32_e32 v2, v2, v4, vcc
	v_mov_b32_e32 v3, 0
.LBB18_5:
	s_or_b64 exec, exec, s[0:1]
	v_or_b32_e32 v5, s25, v3
	v_mov_b32_e32 v4, 0
	v_cmp_ne_u64_e32 vcc, 0, v[4:5]
                                        ; implicit-def: $vgpr4_vgpr5
	s_and_saveexec_b64 s[0:1], vcc
	s_xor_b64 s[2:3], exec, s[0:1]
	s_cbranch_execz .LBB18_7
; %bb.6:
	v_cvt_f32_u32_e32 v4, s24
	v_cvt_f32_u32_e32 v5, s25
	s_sub_u32 s28, 0, s24
	s_subb_u32 s29, 0, s25
	v_madmk_f32 v4, v5, 0x4f800000, v4
	v_rcp_f32_e32 v4, v4
	v_mul_f32_e32 v4, 0x5f7ffffc, v4
	v_mul_f32_e32 v5, 0x2f800000, v4
	v_trunc_f32_e32 v5, v5
	v_madmk_f32 v4, v5, 0xcf800000, v4
	v_cvt_u32_f32_e32 v5, v5
	v_cvt_u32_f32_e32 v4, v4
	v_readfirstlane_b32 s30, v5
	v_readfirstlane_b32 s0, v4
	s_mul_i32 s1, s28, s30
	s_mul_hi_u32 s33, s28, s0
	s_mul_i32 s31, s29, s0
	s_add_i32 s1, s33, s1
	s_mul_i32 s34, s28, s0
	s_add_i32 s1, s1, s31
	s_mul_i32 s33, s0, s1
	s_mul_hi_u32 s35, s0, s34
	s_mul_hi_u32 s31, s0, s1
	s_add_u32 s33, s35, s33
	s_addc_u32 s31, 0, s31
	s_mul_hi_u32 s36, s30, s34
	s_mul_i32 s34, s30, s34
	s_add_u32 s33, s33, s34
	s_mul_hi_u32 s35, s30, s1
	s_addc_u32 s31, s31, s36
	s_addc_u32 s33, s35, 0
	s_mul_i32 s1, s30, s1
	s_add_u32 s1, s31, s1
	s_addc_u32 s31, 0, s33
	s_add_u32 s33, s0, s1
	s_cselect_b64 s[0:1], -1, 0
	s_cmp_lg_u64 s[0:1], 0
	s_addc_u32 s30, s30, s31
	s_mul_i32 s0, s28, s30
	s_mul_hi_u32 s1, s28, s33
	s_add_i32 s0, s1, s0
	s_mul_i32 s29, s29, s33
	s_add_i32 s0, s0, s29
	s_mul_i32 s28, s28, s33
	s_mul_hi_u32 s29, s30, s28
	s_mul_i32 s31, s30, s28
	s_mul_i32 s35, s33, s0
	s_mul_hi_u32 s28, s33, s28
	s_mul_hi_u32 s34, s33, s0
	s_add_u32 s28, s28, s35
	s_addc_u32 s34, 0, s34
	s_add_u32 s28, s28, s31
	s_mul_hi_u32 s1, s30, s0
	s_addc_u32 s28, s34, s29
	s_addc_u32 s1, s1, 0
	s_mul_i32 s0, s30, s0
	s_add_u32 s0, s28, s0
	s_addc_u32 s28, 0, s1
	s_add_u32 s29, s33, s0
	s_cselect_b64 s[0:1], -1, 0
	s_cmp_lg_u64 s[0:1], 0
	s_addc_u32 s28, s30, s28
	v_mad_u64_u32 v[4:5], s[0:1], v2, s28, 0
	v_mul_hi_u32 v6, v2, s29
	v_add_co_u32_e32 v8, vcc, v6, v4
	v_addc_co_u32_e32 v9, vcc, 0, v5, vcc
	v_mad_u64_u32 v[4:5], s[0:1], v3, s29, 0
	v_mad_u64_u32 v[6:7], s[0:1], v3, s28, 0
	v_add_co_u32_e32 v4, vcc, v8, v4
	v_addc_co_u32_e32 v4, vcc, v9, v5, vcc
	v_addc_co_u32_e32 v5, vcc, 0, v7, vcc
	v_add_co_u32_e32 v6, vcc, v4, v6
	v_addc_co_u32_e32 v7, vcc, 0, v5, vcc
	v_mul_lo_u32 v8, s25, v6
	v_mul_lo_u32 v9, s24, v7
	v_mad_u64_u32 v[4:5], s[0:1], s24, v6, 0
	v_add3_u32 v5, v5, v9, v8
	v_sub_u32_e32 v8, v3, v5
	v_mov_b32_e32 v9, s25
	v_sub_co_u32_e32 v2, vcc, v2, v4
	v_subb_co_u32_e64 v4, s[0:1], v8, v9, vcc
	v_subrev_co_u32_e64 v8, s[0:1], s24, v2
	v_subbrev_co_u32_e64 v4, s[0:1], 0, v4, s[0:1]
	v_cmp_le_u32_e64 s[0:1], s25, v4
	v_cndmask_b32_e64 v9, 0, -1, s[0:1]
	v_cmp_le_u32_e64 s[0:1], s24, v8
	v_cndmask_b32_e64 v8, 0, -1, s[0:1]
	v_cmp_eq_u32_e64 s[0:1], s25, v4
	v_cndmask_b32_e64 v4, v9, v8, s[0:1]
	v_add_co_u32_e64 v8, s[0:1], 2, v6
	v_subb_co_u32_e32 v3, vcc, v3, v5, vcc
	v_addc_co_u32_e64 v9, s[0:1], 0, v7, s[0:1]
	v_cmp_le_u32_e32 vcc, s25, v3
	v_add_co_u32_e64 v10, s[0:1], 1, v6
	v_cndmask_b32_e64 v5, 0, -1, vcc
	v_cmp_le_u32_e32 vcc, s24, v2
	v_addc_co_u32_e64 v11, s[0:1], 0, v7, s[0:1]
	v_cndmask_b32_e64 v2, 0, -1, vcc
	v_cmp_eq_u32_e32 vcc, s25, v3
	v_cmp_ne_u32_e64 s[0:1], 0, v4
	v_cndmask_b32_e32 v2, v5, v2, vcc
	v_cndmask_b32_e64 v4, v11, v9, s[0:1]
	v_cmp_ne_u32_e32 vcc, 0, v2
	v_cndmask_b32_e64 v2, v10, v8, s[0:1]
	v_cndmask_b32_e32 v5, v7, v4, vcc
	v_cndmask_b32_e32 v4, v6, v2, vcc
                                        ; implicit-def: $vgpr2_vgpr3
.LBB18_7:
	s_andn2_saveexec_b64 s[0:1], s[2:3]
	s_cbranch_execz .LBB18_9
; %bb.8:
	v_cvt_f32_u32_e32 v3, s24
	s_sub_i32 s2, 0, s24
	v_rcp_iflag_f32_e32 v3, v3
	v_mul_f32_e32 v3, 0x4f7ffffe, v3
	v_cvt_u32_f32_e32 v3, v3
	v_mul_lo_u32 v4, s2, v3
	v_mul_hi_u32 v4, v3, v4
	v_add_u32_e32 v3, v3, v4
	v_mul_hi_u32 v3, v2, v3
	v_mul_lo_u32 v4, v3, s24
	v_add_u32_e32 v5, 1, v3
	v_sub_u32_e32 v2, v2, v4
	v_subrev_u32_e32 v4, s24, v2
	v_cmp_le_u32_e32 vcc, s24, v2
	v_cndmask_b32_e32 v2, v2, v4, vcc
	v_cndmask_b32_e32 v3, v3, v5, vcc
	v_add_u32_e32 v4, 1, v3
	v_cmp_le_u32_e32 vcc, s24, v2
	v_cndmask_b32_e32 v4, v3, v4, vcc
	v_mov_b32_e32 v5, 0
.LBB18_9:
	s_or_b64 exec, exec, s[0:1]
	v_or_b32_e32 v3, s21, v5
	v_mov_b32_e32 v2, 0
	v_cmp_ne_u64_e32 vcc, 0, v[2:3]
                                        ; implicit-def: $vgpr2_vgpr3
	s_and_saveexec_b64 s[0:1], vcc
	s_xor_b64 s[2:3], exec, s[0:1]
	s_cbranch_execz .LBB18_11
; %bb.10:
	v_cvt_f32_u32_e32 v2, s20
	v_cvt_f32_u32_e32 v3, s21
	s_sub_u32 s28, 0, s20
	s_subb_u32 s29, 0, s21
	v_madmk_f32 v2, v3, 0x4f800000, v2
	v_rcp_f32_e32 v2, v2
	v_mul_f32_e32 v2, 0x5f7ffffc, v2
	v_mul_f32_e32 v3, 0x2f800000, v2
	v_trunc_f32_e32 v3, v3
	v_madmk_f32 v2, v3, 0xcf800000, v2
	v_cvt_u32_f32_e32 v3, v3
	v_cvt_u32_f32_e32 v2, v2
	v_readfirstlane_b32 s30, v3
	v_readfirstlane_b32 s0, v2
	s_mul_i32 s1, s28, s30
	s_mul_hi_u32 s33, s28, s0
	s_mul_i32 s31, s29, s0
	s_add_i32 s1, s33, s1
	s_mul_i32 s34, s28, s0
	s_add_i32 s1, s1, s31
	s_mul_i32 s33, s0, s1
	s_mul_hi_u32 s35, s0, s34
	s_mul_hi_u32 s31, s0, s1
	s_add_u32 s33, s35, s33
	s_addc_u32 s31, 0, s31
	s_mul_hi_u32 s36, s30, s34
	s_mul_i32 s34, s30, s34
	s_add_u32 s33, s33, s34
	s_mul_hi_u32 s35, s30, s1
	s_addc_u32 s31, s31, s36
	s_addc_u32 s33, s35, 0
	s_mul_i32 s1, s30, s1
	s_add_u32 s1, s31, s1
	s_addc_u32 s31, 0, s33
	s_add_u32 s33, s0, s1
	s_cselect_b64 s[0:1], -1, 0
	s_cmp_lg_u64 s[0:1], 0
	s_addc_u32 s30, s30, s31
	s_mul_i32 s0, s28, s30
	s_mul_hi_u32 s1, s28, s33
	s_add_i32 s0, s1, s0
	s_mul_i32 s29, s29, s33
	s_add_i32 s0, s0, s29
	s_mul_i32 s28, s28, s33
	s_mul_hi_u32 s29, s30, s28
	s_mul_i32 s31, s30, s28
	s_mul_i32 s35, s33, s0
	s_mul_hi_u32 s28, s33, s28
	s_mul_hi_u32 s34, s33, s0
	s_add_u32 s28, s28, s35
	s_addc_u32 s34, 0, s34
	s_add_u32 s28, s28, s31
	s_mul_hi_u32 s1, s30, s0
	s_addc_u32 s28, s34, s29
	s_addc_u32 s1, s1, 0
	s_mul_i32 s0, s30, s0
	s_add_u32 s0, s28, s0
	s_addc_u32 s28, 0, s1
	s_add_u32 s29, s33, s0
	s_cselect_b64 s[0:1], -1, 0
	s_cmp_lg_u64 s[0:1], 0
	s_addc_u32 s28, s30, s28
	v_mad_u64_u32 v[2:3], s[0:1], v4, s28, 0
	v_mul_hi_u32 v6, v4, s29
	v_add_co_u32_e32 v8, vcc, v6, v2
	v_addc_co_u32_e32 v9, vcc, 0, v3, vcc
	v_mad_u64_u32 v[2:3], s[0:1], v5, s29, 0
	v_mad_u64_u32 v[6:7], s[0:1], v5, s28, 0
	v_add_co_u32_e32 v2, vcc, v8, v2
	v_addc_co_u32_e32 v2, vcc, v9, v3, vcc
	v_addc_co_u32_e32 v3, vcc, 0, v7, vcc
	v_add_co_u32_e32 v2, vcc, v2, v6
	v_addc_co_u32_e32 v3, vcc, 0, v3, vcc
	v_mul_lo_u32 v6, s21, v2
	v_mul_lo_u32 v7, s20, v3
	v_mad_u64_u32 v[2:3], s[0:1], s20, v2, 0
	v_add3_u32 v3, v3, v7, v6
	v_sub_u32_e32 v6, v5, v3
	v_mov_b32_e32 v7, s21
	v_sub_co_u32_e32 v2, vcc, v4, v2
	v_subb_co_u32_e64 v4, s[0:1], v6, v7, vcc
	v_subrev_co_u32_e64 v6, s[0:1], s20, v2
	v_subbrev_co_u32_e64 v4, s[0:1], 0, v4, s[0:1]
	v_cmp_le_u32_e64 s[0:1], s21, v4
	v_subb_co_u32_e32 v3, vcc, v5, v3, vcc
	v_cndmask_b32_e64 v7, 0, -1, s[0:1]
	v_cmp_le_u32_e64 s[0:1], s20, v6
	v_cmp_le_u32_e32 vcc, s21, v3
	v_cndmask_b32_e64 v8, 0, -1, s[0:1]
	v_cmp_eq_u32_e64 s[0:1], s21, v4
	v_cndmask_b32_e64 v5, 0, -1, vcc
	v_cmp_le_u32_e32 vcc, s20, v2
	v_cndmask_b32_e64 v4, v7, v8, s[0:1]
	v_cndmask_b32_e64 v8, 0, -1, vcc
	v_cmp_eq_u32_e32 vcc, s21, v3
	v_subrev_co_u32_e64 v7, s[0:1], s20, v6
	v_cndmask_b32_e32 v3, v5, v8, vcc
	v_cmp_ne_u32_e32 vcc, 0, v4
	v_cndmask_b32_e32 v4, v6, v7, vcc
	v_cmp_ne_u32_e32 vcc, 0, v3
	v_cndmask_b32_e32 v2, v2, v4, vcc
                                        ; implicit-def: $vgpr4_vgpr5
.LBB18_11:
	s_andn2_saveexec_b64 s[0:1], s[2:3]
	s_cbranch_execz .LBB18_13
; %bb.12:
	v_cvt_f32_u32_e32 v2, s20
	s_sub_i32 s2, 0, s20
	v_rcp_iflag_f32_e32 v2, v2
	v_mul_f32_e32 v2, 0x4f7ffffe, v2
	v_cvt_u32_f32_e32 v2, v2
	v_mul_lo_u32 v3, s2, v2
	v_mul_hi_u32 v3, v2, v3
	v_add_u32_e32 v2, v2, v3
	v_mul_hi_u32 v2, v4, v2
	v_mul_lo_u32 v2, v2, s20
	v_sub_u32_e32 v2, v4, v2
	v_subrev_u32_e32 v3, s20, v2
	v_cmp_le_u32_e32 vcc, s20, v2
	v_cndmask_b32_e32 v2, v2, v3, vcc
	v_subrev_u32_e32 v3, s20, v2
	v_cmp_le_u32_e32 vcc, s20, v2
	v_cndmask_b32_e32 v2, v2, v3, vcc
.LBB18_13:
	s_or_b64 exec, exec, s[0:1]
	v_or_b32_e32 v4, s25, v1
	v_mov_b32_e32 v3, 0
	v_cmp_ne_u64_e32 vcc, 0, v[3:4]
                                        ; implicit-def: $vgpr3_vgpr4
	s_and_saveexec_b64 s[0:1], vcc
	s_xor_b64 s[2:3], exec, s[0:1]
	s_cbranch_execz .LBB18_15
; %bb.14:
	v_cvt_f32_u32_e32 v3, s24
	v_cvt_f32_u32_e32 v4, s25
	s_sub_u32 s20, 0, s24
	s_subb_u32 s21, 0, s25
	v_madmk_f32 v3, v4, 0x4f800000, v3
	v_rcp_f32_e32 v3, v3
	v_mul_f32_e32 v3, 0x5f7ffffc, v3
	v_mul_f32_e32 v4, 0x2f800000, v3
	v_trunc_f32_e32 v4, v4
	v_madmk_f32 v3, v4, 0xcf800000, v3
	v_cvt_u32_f32_e32 v4, v4
	v_cvt_u32_f32_e32 v3, v3
	v_readfirstlane_b32 s28, v4
	v_readfirstlane_b32 s0, v3
	s_mul_i32 s1, s20, s28
	s_mul_hi_u32 s30, s20, s0
	s_mul_i32 s29, s21, s0
	s_add_i32 s1, s30, s1
	s_mul_i32 s31, s20, s0
	s_add_i32 s1, s1, s29
	s_mul_i32 s30, s0, s1
	s_mul_hi_u32 s33, s0, s31
	s_mul_hi_u32 s29, s0, s1
	s_add_u32 s30, s33, s30
	s_addc_u32 s29, 0, s29
	s_mul_hi_u32 s34, s28, s31
	s_mul_i32 s31, s28, s31
	s_add_u32 s30, s30, s31
	s_mul_hi_u32 s33, s28, s1
	s_addc_u32 s29, s29, s34
	s_addc_u32 s30, s33, 0
	s_mul_i32 s1, s28, s1
	s_add_u32 s1, s29, s1
	s_addc_u32 s29, 0, s30
	s_add_u32 s30, s0, s1
	s_cselect_b64 s[0:1], -1, 0
	s_cmp_lg_u64 s[0:1], 0
	s_addc_u32 s28, s28, s29
	s_mul_i32 s0, s20, s28
	s_mul_hi_u32 s1, s20, s30
	s_add_i32 s0, s1, s0
	s_mul_i32 s21, s21, s30
	s_add_i32 s0, s0, s21
	s_mul_i32 s20, s20, s30
	s_mul_hi_u32 s21, s28, s20
	s_mul_i32 s29, s28, s20
	s_mul_i32 s33, s30, s0
	s_mul_hi_u32 s20, s30, s20
	s_mul_hi_u32 s31, s30, s0
	s_add_u32 s20, s20, s33
	s_addc_u32 s31, 0, s31
	s_add_u32 s20, s20, s29
	s_mul_hi_u32 s1, s28, s0
	s_addc_u32 s20, s31, s21
	s_addc_u32 s1, s1, 0
	s_mul_i32 s0, s28, s0
	s_add_u32 s0, s20, s0
	s_addc_u32 s20, 0, s1
	s_add_u32 s21, s30, s0
	s_cselect_b64 s[0:1], -1, 0
	s_cmp_lg_u64 s[0:1], 0
	s_addc_u32 s20, s28, s20
	v_mad_u64_u32 v[3:4], s[0:1], v0, s20, 0
	v_mul_hi_u32 v5, v0, s21
	v_add_co_u32_e32 v7, vcc, v5, v3
	v_addc_co_u32_e32 v8, vcc, 0, v4, vcc
	v_mad_u64_u32 v[3:4], s[0:1], v1, s21, 0
	v_mad_u64_u32 v[5:6], s[0:1], v1, s20, 0
	v_add_co_u32_e32 v3, vcc, v7, v3
	v_addc_co_u32_e32 v3, vcc, v8, v4, vcc
	v_addc_co_u32_e32 v4, vcc, 0, v6, vcc
	v_add_co_u32_e32 v5, vcc, v3, v5
	v_addc_co_u32_e32 v6, vcc, 0, v4, vcc
	v_mul_lo_u32 v7, s25, v5
	v_mul_lo_u32 v8, s24, v6
	v_mad_u64_u32 v[3:4], s[0:1], s24, v5, 0
	v_add3_u32 v4, v4, v8, v7
	v_sub_u32_e32 v7, v1, v4
	v_mov_b32_e32 v8, s25
	v_sub_co_u32_e32 v3, vcc, v0, v3
	v_subb_co_u32_e64 v7, s[0:1], v7, v8, vcc
	v_subrev_co_u32_e64 v8, s[0:1], s24, v3
	v_subbrev_co_u32_e64 v7, s[0:1], 0, v7, s[0:1]
	v_cmp_le_u32_e64 s[0:1], s25, v7
	v_cndmask_b32_e64 v9, 0, -1, s[0:1]
	v_cmp_le_u32_e64 s[0:1], s24, v8
	v_cndmask_b32_e64 v8, 0, -1, s[0:1]
	v_cmp_eq_u32_e64 s[0:1], s25, v7
	v_cndmask_b32_e64 v7, v9, v8, s[0:1]
	v_add_co_u32_e64 v8, s[0:1], 2, v5
	v_addc_co_u32_e64 v9, s[0:1], 0, v6, s[0:1]
	v_add_co_u32_e64 v10, s[0:1], 1, v5
	v_addc_co_u32_e64 v11, s[0:1], 0, v6, s[0:1]
	v_subb_co_u32_e32 v4, vcc, v1, v4, vcc
	v_cmp_ne_u32_e64 s[0:1], 0, v7
	v_cmp_le_u32_e32 vcc, s25, v4
	v_cndmask_b32_e64 v7, v11, v9, s[0:1]
	v_cndmask_b32_e64 v9, 0, -1, vcc
	v_cmp_le_u32_e32 vcc, s24, v3
	v_cndmask_b32_e64 v3, 0, -1, vcc
	v_cmp_eq_u32_e32 vcc, s25, v4
	v_cndmask_b32_e32 v3, v9, v3, vcc
	v_cmp_ne_u32_e32 vcc, 0, v3
	v_cndmask_b32_e64 v3, v10, v8, s[0:1]
	v_cndmask_b32_e32 v4, v6, v7, vcc
	v_cndmask_b32_e32 v3, v5, v3, vcc
.LBB18_15:
	s_andn2_saveexec_b64 s[0:1], s[2:3]
	s_cbranch_execz .LBB18_17
; %bb.16:
	v_cvt_f32_u32_e32 v3, s24
	s_sub_i32 s2, 0, s24
	v_rcp_iflag_f32_e32 v3, v3
	v_mul_f32_e32 v3, 0x4f7ffffe, v3
	v_cvt_u32_f32_e32 v3, v3
	v_mul_lo_u32 v4, s2, v3
	v_mul_hi_u32 v4, v3, v4
	v_add_u32_e32 v3, v3, v4
	v_mul_hi_u32 v3, v0, v3
	v_mul_lo_u32 v4, v3, s24
	v_add_u32_e32 v5, 1, v3
	v_sub_u32_e32 v4, v0, v4
	v_subrev_u32_e32 v6, s24, v4
	v_cmp_le_u32_e32 vcc, s24, v4
	v_cndmask_b32_e32 v4, v4, v6, vcc
	v_cndmask_b32_e32 v3, v3, v5, vcc
	v_add_u32_e32 v5, 1, v3
	v_cmp_le_u32_e32 vcc, s24, v4
	v_cndmask_b32_e32 v3, v3, v5, vcc
	v_mov_b32_e32 v4, 0
.LBB18_17:
	s_or_b64 exec, exec, s[0:1]
	v_or_b32_e32 v6, s23, v4
	v_mov_b32_e32 v5, 0
	v_cmp_ne_u64_e32 vcc, 0, v[5:6]
                                        ; implicit-def: $vgpr5_vgpr6
	s_and_saveexec_b64 s[0:1], vcc
	s_xor_b64 s[2:3], exec, s[0:1]
	s_cbranch_execnz .LBB18_20
; %bb.18:
	s_andn2_saveexec_b64 s[0:1], s[2:3]
	s_cbranch_execnz .LBB18_21
.LBB18_19:
	s_or_b64 exec, exec, s[0:1]
	s_cmp_eq_u64 s[10:11], 0
	s_cbranch_scc0 .LBB18_22
	s_branch .LBB18_44
.LBB18_20:
	v_cvt_f32_u32_e32 v5, s22
	v_cvt_f32_u32_e32 v6, s23
	s_sub_u32 s20, 0, s22
	s_subb_u32 s21, 0, s23
	v_madmk_f32 v5, v6, 0x4f800000, v5
	v_rcp_f32_e32 v5, v5
	v_mul_f32_e32 v5, 0x5f7ffffc, v5
	v_mul_f32_e32 v6, 0x2f800000, v5
	v_trunc_f32_e32 v6, v6
	v_madmk_f32 v5, v6, 0xcf800000, v5
	v_cvt_u32_f32_e32 v6, v6
	v_cvt_u32_f32_e32 v5, v5
	v_readfirstlane_b32 s28, v6
	v_readfirstlane_b32 s0, v5
	s_mul_i32 s1, s20, s28
	s_mul_hi_u32 s30, s20, s0
	s_mul_i32 s29, s21, s0
	s_add_i32 s1, s30, s1
	s_mul_i32 s31, s20, s0
	s_add_i32 s1, s1, s29
	s_mul_i32 s30, s0, s1
	s_mul_hi_u32 s33, s0, s31
	s_mul_hi_u32 s29, s0, s1
	s_add_u32 s30, s33, s30
	s_addc_u32 s29, 0, s29
	s_mul_hi_u32 s34, s28, s31
	s_mul_i32 s31, s28, s31
	s_add_u32 s30, s30, s31
	s_mul_hi_u32 s33, s28, s1
	s_addc_u32 s29, s29, s34
	s_addc_u32 s30, s33, 0
	s_mul_i32 s1, s28, s1
	s_add_u32 s1, s29, s1
	s_addc_u32 s29, 0, s30
	s_add_u32 s30, s0, s1
	s_cselect_b64 s[0:1], -1, 0
	s_cmp_lg_u64 s[0:1], 0
	s_addc_u32 s28, s28, s29
	s_mul_i32 s0, s20, s28
	s_mul_hi_u32 s1, s20, s30
	s_add_i32 s0, s1, s0
	s_mul_i32 s21, s21, s30
	s_add_i32 s0, s0, s21
	s_mul_i32 s20, s20, s30
	s_mul_hi_u32 s21, s28, s20
	s_mul_i32 s29, s28, s20
	s_mul_i32 s33, s30, s0
	s_mul_hi_u32 s20, s30, s20
	s_mul_hi_u32 s31, s30, s0
	s_add_u32 s20, s20, s33
	s_addc_u32 s31, 0, s31
	s_add_u32 s20, s20, s29
	s_mul_hi_u32 s1, s28, s0
	s_addc_u32 s20, s31, s21
	s_addc_u32 s1, s1, 0
	s_mul_i32 s0, s28, s0
	s_add_u32 s0, s20, s0
	s_addc_u32 s20, 0, s1
	s_add_u32 s21, s30, s0
	s_cselect_b64 s[0:1], -1, 0
	s_cmp_lg_u64 s[0:1], 0
	s_addc_u32 s20, s28, s20
	v_mad_u64_u32 v[5:6], s[0:1], v3, s20, 0
	v_mul_hi_u32 v7, v3, s21
	v_add_co_u32_e32 v9, vcc, v7, v5
	v_addc_co_u32_e32 v10, vcc, 0, v6, vcc
	v_mad_u64_u32 v[5:6], s[0:1], v4, s21, 0
	v_mad_u64_u32 v[7:8], s[0:1], v4, s20, 0
	v_add_co_u32_e32 v5, vcc, v9, v5
	v_addc_co_u32_e32 v5, vcc, v10, v6, vcc
	v_addc_co_u32_e32 v6, vcc, 0, v8, vcc
	v_add_co_u32_e32 v5, vcc, v5, v7
	v_addc_co_u32_e32 v6, vcc, 0, v6, vcc
	v_mul_lo_u32 v7, s23, v5
	v_mul_lo_u32 v8, s22, v6
	v_mad_u64_u32 v[5:6], s[0:1], s22, v5, 0
	v_add3_u32 v6, v6, v8, v7
	v_sub_u32_e32 v7, v4, v6
	v_mov_b32_e32 v8, s23
	v_sub_co_u32_e32 v5, vcc, v3, v5
	v_subb_co_u32_e64 v7, s[0:1], v7, v8, vcc
	v_subrev_co_u32_e64 v8, s[0:1], s22, v5
	v_subbrev_co_u32_e64 v7, s[0:1], 0, v7, s[0:1]
	v_cmp_le_u32_e64 s[0:1], s23, v7
	v_subb_co_u32_e32 v4, vcc, v4, v6, vcc
	v_cndmask_b32_e64 v9, 0, -1, s[0:1]
	v_cmp_le_u32_e64 s[0:1], s22, v8
	v_cmp_le_u32_e32 vcc, s23, v4
	v_cndmask_b32_e64 v10, 0, -1, s[0:1]
	v_cmp_eq_u32_e64 s[0:1], s23, v7
	v_cndmask_b32_e64 v6, 0, -1, vcc
	v_cmp_le_u32_e32 vcc, s22, v5
	v_cndmask_b32_e64 v7, v9, v10, s[0:1]
	v_cndmask_b32_e64 v10, 0, -1, vcc
	v_cmp_eq_u32_e32 vcc, s23, v4
	v_subrev_co_u32_e64 v9, s[0:1], s22, v8
	v_cndmask_b32_e32 v4, v6, v10, vcc
	v_cmp_ne_u32_e32 vcc, 0, v7
	v_cndmask_b32_e32 v6, v8, v9, vcc
	v_cmp_ne_u32_e32 vcc, 0, v4
	v_cndmask_b32_e32 v5, v5, v6, vcc
	s_andn2_saveexec_b64 s[0:1], s[2:3]
	s_cbranch_execz .LBB18_19
.LBB18_21:
	v_cvt_f32_u32_e32 v4, s22
	s_sub_i32 s2, 0, s22
	v_rcp_iflag_f32_e32 v4, v4
	v_mul_f32_e32 v4, 0x4f7ffffe, v4
	v_cvt_u32_f32_e32 v4, v4
	v_mul_lo_u32 v5, s2, v4
	v_mul_hi_u32 v5, v4, v5
	v_add_u32_e32 v4, v4, v5
	v_mul_hi_u32 v4, v3, v4
	v_mul_lo_u32 v4, v4, s22
	v_sub_u32_e32 v4, v3, v4
	v_subrev_u32_e32 v5, s22, v4
	v_cmp_le_u32_e32 vcc, s22, v4
	v_cndmask_b32_e32 v4, v4, v5, vcc
	v_subrev_u32_e32 v5, s22, v4
	v_cmp_le_u32_e32 vcc, s22, v4
	v_cndmask_b32_e32 v5, v4, v5, vcc
	s_or_b64 exec, exec, s[0:1]
	s_cmp_eq_u64 s[10:11], 0
	s_cbranch_scc1 .LBB18_44
.LBB18_22:
	s_mul_i32 s0, s6, s25
	s_mul_hi_u32 s1, s6, s24
	s_add_i32 s0, s1, s0
	s_mul_i32 s7, s7, s24
	s_add_i32 s22, s0, s7
	v_or_b32_e32 v7, s22, v1
	v_mov_b32_e32 v6, 0
	v_cmp_ne_u64_e32 vcc, 0, v[6:7]
	s_mul_i32 s23, s6, s24
                                        ; implicit-def: $vgpr8_vgpr9
	s_and_saveexec_b64 s[0:1], vcc
	s_xor_b64 s[2:3], exec, s[0:1]
	s_cbranch_execz .LBB18_24
; %bb.23:
	s_ashr_i32 s6, s22, 31
	s_add_u32 s0, s23, s6
	s_mov_b32 s7, s6
	s_addc_u32 s1, s22, s6
	s_xor_b64 s[20:21], s[0:1], s[6:7]
	v_cvt_f32_u32_e32 v4, s20
	v_cvt_f32_u32_e32 v6, s21
	s_sub_u32 s7, 0, s20
	s_subb_u32 s25, 0, s21
	v_madmk_f32 v4, v6, 0x4f800000, v4
	v_rcp_f32_e32 v4, v4
	v_mul_f32_e32 v4, 0x5f7ffffc, v4
	v_mul_f32_e32 v6, 0x2f800000, v4
	v_trunc_f32_e32 v6, v6
	v_madmk_f32 v4, v6, 0xcf800000, v4
	v_cvt_u32_f32_e32 v6, v6
	v_cvt_u32_f32_e32 v4, v4
	v_readfirstlane_b32 s28, v6
	v_readfirstlane_b32 s0, v4
	s_mul_i32 s1, s7, s28
	s_mul_hi_u32 s30, s7, s0
	s_mul_i32 s29, s25, s0
	s_add_i32 s1, s30, s1
	s_add_i32 s1, s1, s29
	s_mul_i32 s31, s7, s0
	s_mul_i32 s30, s0, s1
	s_mul_hi_u32 s33, s0, s31
	s_mul_hi_u32 s29, s0, s1
	s_add_u32 s30, s33, s30
	s_addc_u32 s29, 0, s29
	s_mul_hi_u32 s34, s28, s31
	s_mul_i32 s31, s28, s31
	s_add_u32 s30, s30, s31
	s_mul_hi_u32 s33, s28, s1
	s_addc_u32 s29, s29, s34
	s_addc_u32 s30, s33, 0
	s_mul_i32 s1, s28, s1
	s_add_u32 s1, s29, s1
	s_addc_u32 s29, 0, s30
	s_add_u32 s30, s0, s1
	s_cselect_b64 s[0:1], -1, 0
	s_cmp_lg_u64 s[0:1], 0
	s_addc_u32 s28, s28, s29
	s_mul_i32 s0, s7, s28
	s_mul_hi_u32 s1, s7, s30
	s_add_i32 s0, s1, s0
	s_mul_i32 s25, s25, s30
	s_add_i32 s0, s0, s25
	s_mul_i32 s7, s7, s30
	s_mul_hi_u32 s25, s28, s7
	s_mul_i32 s29, s28, s7
	s_mul_i32 s33, s30, s0
	s_mul_hi_u32 s7, s30, s7
	s_mul_hi_u32 s31, s30, s0
	s_add_u32 s7, s7, s33
	s_addc_u32 s31, 0, s31
	s_add_u32 s7, s7, s29
	s_mul_hi_u32 s1, s28, s0
	s_addc_u32 s7, s31, s25
	s_addc_u32 s1, s1, 0
	s_mul_i32 s0, s28, s0
	s_add_u32 s0, s7, s0
	s_addc_u32 s7, 0, s1
	s_add_u32 s25, s30, s0
	s_cselect_b64 s[0:1], -1, 0
	v_ashrrev_i32_e32 v4, 31, v1
	s_cmp_lg_u64 s[0:1], 0
	v_add_co_u32_e32 v6, vcc, v0, v4
	s_addc_u32 s7, s28, s7
	v_xor_b32_e32 v10, v6, v4
	v_mad_u64_u32 v[6:7], s[0:1], v10, s7, 0
	v_mul_hi_u32 v9, v10, s25
	v_addc_co_u32_e32 v8, vcc, v1, v4, vcc
	v_xor_b32_e32 v11, v8, v4
	v_add_co_u32_e32 v12, vcc, v9, v6
	v_addc_co_u32_e32 v13, vcc, 0, v7, vcc
	v_mad_u64_u32 v[6:7], s[0:1], v11, s25, 0
	v_mad_u64_u32 v[8:9], s[0:1], v11, s7, 0
	v_add_co_u32_e32 v6, vcc, v12, v6
	v_addc_co_u32_e32 v6, vcc, v13, v7, vcc
	v_addc_co_u32_e32 v7, vcc, 0, v9, vcc
	v_add_co_u32_e32 v8, vcc, v6, v8
	v_addc_co_u32_e32 v9, vcc, 0, v7, vcc
	v_mul_lo_u32 v12, s21, v8
	v_mul_lo_u32 v13, s20, v9
	v_mad_u64_u32 v[6:7], s[0:1], s20, v8, 0
	v_xor_b32_e32 v4, s6, v4
	v_add3_u32 v7, v7, v13, v12
	v_sub_u32_e32 v12, v11, v7
	v_mov_b32_e32 v13, s21
	v_sub_co_u32_e32 v6, vcc, v10, v6
	v_subb_co_u32_e64 v10, s[0:1], v12, v13, vcc
	v_subrev_co_u32_e64 v12, s[0:1], s20, v6
	v_subbrev_co_u32_e64 v10, s[0:1], 0, v10, s[0:1]
	v_cmp_le_u32_e64 s[0:1], s21, v10
	v_cndmask_b32_e64 v13, 0, -1, s[0:1]
	v_cmp_le_u32_e64 s[0:1], s20, v12
	v_cndmask_b32_e64 v12, 0, -1, s[0:1]
	v_cmp_eq_u32_e64 s[0:1], s21, v10
	v_cndmask_b32_e64 v10, v13, v12, s[0:1]
	v_add_co_u32_e64 v12, s[0:1], 2, v8
	v_subb_co_u32_e32 v7, vcc, v11, v7, vcc
	v_addc_co_u32_e64 v13, s[0:1], 0, v9, s[0:1]
	v_cmp_le_u32_e32 vcc, s21, v7
	v_add_co_u32_e64 v14, s[0:1], 1, v8
	v_cndmask_b32_e64 v11, 0, -1, vcc
	v_cmp_le_u32_e32 vcc, s20, v6
	v_addc_co_u32_e64 v15, s[0:1], 0, v9, s[0:1]
	v_cndmask_b32_e64 v6, 0, -1, vcc
	v_cmp_eq_u32_e32 vcc, s21, v7
	v_cmp_ne_u32_e64 s[0:1], 0, v10
	v_cndmask_b32_e32 v6, v11, v6, vcc
	v_cmp_ne_u32_e32 vcc, 0, v6
	v_cndmask_b32_e64 v7, v14, v12, s[0:1]
	v_cndmask_b32_e64 v10, v15, v13, s[0:1]
	v_cndmask_b32_e32 v7, v8, v7, vcc
	v_cndmask_b32_e32 v6, v9, v10, vcc
	v_xor_b32_e32 v7, v7, v4
	v_xor_b32_e32 v6, v6, v4
	v_sub_co_u32_e32 v8, vcc, v7, v4
	v_subb_co_u32_e32 v9, vcc, v6, v4, vcc
.LBB18_24:
	s_andn2_saveexec_b64 s[0:1], s[2:3]
	s_cbranch_execz .LBB18_26
; %bb.25:
	v_cvt_f32_u32_e32 v4, s23
	s_sub_i32 s2, 0, s23
	v_mov_b32_e32 v9, 0
	v_rcp_iflag_f32_e32 v4, v4
	v_mul_f32_e32 v4, 0x4f7ffffe, v4
	v_cvt_u32_f32_e32 v4, v4
	v_mul_lo_u32 v6, s2, v4
	v_mul_hi_u32 v6, v4, v6
	v_add_u32_e32 v4, v4, v6
	v_mul_hi_u32 v4, v0, v4
	v_mul_lo_u32 v6, v4, s23
	v_add_u32_e32 v7, 1, v4
	v_sub_u32_e32 v6, v0, v6
	v_subrev_u32_e32 v8, s23, v6
	v_cmp_le_u32_e32 vcc, s23, v6
	v_cndmask_b32_e32 v6, v6, v8, vcc
	v_cndmask_b32_e32 v4, v4, v7, vcc
	v_add_u32_e32 v7, 1, v4
	v_cmp_le_u32_e32 vcc, s23, v6
	v_cndmask_b32_e32 v8, v4, v7, vcc
.LBB18_26:
	s_or_b64 exec, exec, s[0:1]
	v_or_b32_e32 v7, s13, v9
	v_mov_b32_e32 v6, 0
	v_cmp_ne_u64_e32 vcc, 0, v[6:7]
                                        ; implicit-def: $vgpr6_vgpr7
	s_and_saveexec_b64 s[0:1], vcc
	s_xor_b64 s[2:3], exec, s[0:1]
	s_cbranch_execz .LBB18_28
; %bb.27:
	v_cvt_f32_u32_e32 v4, s12
	v_cvt_f32_u32_e32 v6, s13
	s_sub_u32 s6, 0, s12
	s_subb_u32 s7, 0, s13
	v_madmk_f32 v4, v6, 0x4f800000, v4
	v_rcp_f32_e32 v4, v4
	v_mul_f32_e32 v4, 0x5f7ffffc, v4
	v_mul_f32_e32 v6, 0x2f800000, v4
	v_trunc_f32_e32 v6, v6
	v_madmk_f32 v4, v6, 0xcf800000, v4
	v_cvt_u32_f32_e32 v6, v6
	v_cvt_u32_f32_e32 v4, v4
	v_readfirstlane_b32 s20, v6
	v_readfirstlane_b32 s0, v4
	s_mul_i32 s1, s6, s20
	s_mul_hi_u32 s25, s6, s0
	s_mul_i32 s21, s7, s0
	s_add_i32 s1, s25, s1
	s_mul_i32 s28, s6, s0
	s_add_i32 s1, s1, s21
	s_mul_i32 s25, s0, s1
	s_mul_hi_u32 s29, s0, s28
	s_mul_hi_u32 s21, s0, s1
	s_add_u32 s25, s29, s25
	s_addc_u32 s21, 0, s21
	s_mul_hi_u32 s30, s20, s28
	s_mul_i32 s28, s20, s28
	s_add_u32 s25, s25, s28
	s_mul_hi_u32 s29, s20, s1
	s_addc_u32 s21, s21, s30
	s_addc_u32 s25, s29, 0
	s_mul_i32 s1, s20, s1
	s_add_u32 s1, s21, s1
	s_addc_u32 s21, 0, s25
	s_add_u32 s25, s0, s1
	s_cselect_b64 s[0:1], -1, 0
	s_cmp_lg_u64 s[0:1], 0
	s_addc_u32 s20, s20, s21
	s_mul_i32 s0, s6, s20
	s_mul_hi_u32 s1, s6, s25
	s_add_i32 s0, s1, s0
	s_mul_i32 s7, s7, s25
	s_add_i32 s0, s0, s7
	s_mul_i32 s6, s6, s25
	s_mul_hi_u32 s7, s20, s6
	s_mul_i32 s21, s20, s6
	s_mul_i32 s29, s25, s0
	s_mul_hi_u32 s6, s25, s6
	s_mul_hi_u32 s28, s25, s0
	s_add_u32 s6, s6, s29
	s_addc_u32 s28, 0, s28
	s_add_u32 s6, s6, s21
	s_mul_hi_u32 s1, s20, s0
	s_addc_u32 s6, s28, s7
	s_addc_u32 s1, s1, 0
	s_mul_i32 s0, s20, s0
	s_add_u32 s0, s6, s0
	s_addc_u32 s6, 0, s1
	s_add_u32 s7, s25, s0
	s_cselect_b64 s[0:1], -1, 0
	s_cmp_lg_u64 s[0:1], 0
	s_addc_u32 s6, s20, s6
	v_mad_u64_u32 v[6:7], s[0:1], v8, s6, 0
	v_mul_hi_u32 v4, v8, s7
	v_mad_u64_u32 v[10:11], s[0:1], v9, s6, 0
	v_add_co_u32_e32 v4, vcc, v4, v6
	v_addc_co_u32_e32 v12, vcc, 0, v7, vcc
	v_mad_u64_u32 v[6:7], s[0:1], v9, s7, 0
	v_add_co_u32_e32 v4, vcc, v4, v6
	v_addc_co_u32_e32 v4, vcc, v12, v7, vcc
	v_addc_co_u32_e32 v6, vcc, 0, v11, vcc
	v_add_co_u32_e32 v4, vcc, v4, v10
	v_addc_co_u32_e32 v6, vcc, 0, v6, vcc
	v_mul_lo_u32 v10, s13, v4
	v_mul_lo_u32 v11, s12, v6
	v_mad_u64_u32 v[6:7], s[0:1], s12, v4, 0
	v_add3_u32 v4, v7, v11, v10
	v_sub_u32_e32 v7, v9, v4
	v_mov_b32_e32 v10, s13
	v_sub_co_u32_e32 v6, vcc, v8, v6
	v_subb_co_u32_e64 v7, s[0:1], v7, v10, vcc
	v_subrev_co_u32_e64 v8, s[0:1], s12, v6
	v_subbrev_co_u32_e64 v7, s[0:1], 0, v7, s[0:1]
	v_cmp_le_u32_e64 s[0:1], s13, v7
	v_subb_co_u32_e32 v4, vcc, v9, v4, vcc
	v_cndmask_b32_e64 v10, 0, -1, s[0:1]
	v_cmp_le_u32_e64 s[0:1], s12, v8
	v_cmp_le_u32_e32 vcc, s13, v4
	v_cndmask_b32_e64 v11, 0, -1, s[0:1]
	v_cmp_eq_u32_e64 s[0:1], s13, v7
	v_cndmask_b32_e64 v9, 0, -1, vcc
	v_cmp_le_u32_e32 vcc, s12, v6
	v_cndmask_b32_e64 v7, v10, v11, s[0:1]
	v_cndmask_b32_e64 v11, 0, -1, vcc
	v_cmp_eq_u32_e32 vcc, s13, v4
	v_subrev_co_u32_e64 v10, s[0:1], s12, v8
	v_cndmask_b32_e32 v4, v9, v11, vcc
	v_cmp_ne_u32_e32 vcc, 0, v7
	v_cndmask_b32_e32 v7, v8, v10, vcc
	v_cmp_ne_u32_e32 vcc, 0, v4
	v_cndmask_b32_e32 v6, v6, v7, vcc
                                        ; implicit-def: $vgpr8_vgpr9
.LBB18_28:
	s_andn2_saveexec_b64 s[0:1], s[2:3]
	s_cbranch_execz .LBB18_30
; %bb.29:
	v_cvt_f32_u32_e32 v4, s12
	s_sub_i32 s2, 0, s12
	v_rcp_iflag_f32_e32 v4, v4
	v_mul_f32_e32 v4, 0x4f7ffffe, v4
	v_cvt_u32_f32_e32 v4, v4
	v_mul_lo_u32 v6, s2, v4
	v_mul_hi_u32 v6, v4, v6
	v_add_u32_e32 v4, v4, v6
	v_mul_hi_u32 v4, v8, v4
	v_mul_lo_u32 v4, v4, s12
	v_sub_u32_e32 v4, v8, v4
	v_subrev_u32_e32 v6, s12, v4
	v_cmp_le_u32_e32 vcc, s12, v4
	v_cndmask_b32_e32 v4, v4, v6, vcc
	v_subrev_u32_e32 v6, s12, v4
	v_cmp_le_u32_e32 vcc, s12, v4
	v_cndmask_b32_e32 v6, v4, v6, vcc
.LBB18_30:
	s_or_b64 exec, exec, s[0:1]
	v_mul_lo_u32 v3, v3, s24
	s_mul_i32 s0, s18, s17
	s_mul_hi_u32 s1, s18, s16
	s_add_i32 s0, s1, s0
	s_mul_i32 s1, s19, s16
	s_add_i32 s30, s0, s1
	s_load_dwordx4 s[0:3], s[4:5], 0x50
	v_sub_u32_e32 v3, v0, v3
	v_cvt_f32_i32_e32 v8, v3
	v_cvt_f32_i32_e32 v4, v5
	v_add_u32_e32 v5, 1, v5
	v_add_u32_e32 v3, 1, v3
	s_waitcnt lgkmcnt(0)
	v_fma_f32 v8, s2, v8, -0.5
	v_ceil_f32_e32 v8, v8
	v_cvt_i32_f32_e32 v12, v8
	v_cvt_f32_i32_e32 v8, v2
	v_add_u32_e32 v2, 1, v2
	v_cvt_f32_i32_e32 v5, v5
	v_cvt_f32_i32_e32 v3, v3
	v_cvt_f32_i32_e32 v2, v2
	v_fma_f32 v4, s1, v4, -0.5
	v_ceil_f32_e32 v4, v4
	v_cvt_i32_f32_e32 v7, v4
	v_fma_f32 v4, s1, v5, -0.5
	v_fma_f32 v3, s2, v3, -0.5
	;; [unrolled: 1-line block ×3, first 2 shown]
	v_ceil_f32_e32 v4, v4
	v_ceil_f32_e32 v3, v3
	v_fma_f32 v8, s0, v8, -0.5
	v_ceil_f32_e32 v2, v2
	v_cvt_i32_f32_e32 v5, v4
	v_cvt_i32_f32_e32 v3, v3
	v_ceil_f32_e32 v8, v8
	v_cvt_i32_f32_e32 v2, v2
	v_cvt_i32_f32_e32 v13, v8
	s_mul_i32 s31, s18, s16
	s_mul_i32 s0, s31, s15
	s_mul_hi_u32 s1, s31, s14
	s_mul_i32 s6, s23, s13
	s_mul_hi_u32 s7, s23, s12
	v_min_i32_e32 v5, s16, v5
	v_min_i32_e32 v9, s18, v3
	;; [unrolled: 1-line block ×3, first 2 shown]
	s_add_i32 s0, s1, s0
	s_mul_i32 s1, s30, s14
	s_add_i32 s6, s7, s6
	s_mul_i32 s7, s22, s12
	v_min_i32_e32 v4, s16, v7
	v_min_i32_e32 v8, s18, v12
	;; [unrolled: 1-line block ×3, first 2 shown]
	s_add_i32 s33, s0, s1
	s_mul_i32 s34, s31, s14
	v_cmp_gt_i32_e64 s[0:1], v11, v13
	v_cmp_gt_i32_e64 s[2:3], v5, v7
	;; [unrolled: 1-line block ×3, first 2 shown]
	v_ashrrev_i32_e32 v7, 31, v6
	s_add_i32 s35, s6, s7
	s_mul_i32 s36, s23, s12
	s_mov_b64 s[14:15], 0
	s_movk_i32 s37, 0x7fff
	v_mov_b32_e32 v12, 0x7fc0
	s_branch .LBB18_33
.LBB18_31:                              ;   in Loop: Header=BB18_33 Depth=1
	s_or_b64 exec, exec, s[16:17]
.LBB18_32:                              ;   in Loop: Header=BB18_33 Depth=1
	s_or_b64 exec, exec, s[6:7]
	v_bfe_u32 v2, v13, 16, 1
	v_add3_u32 v2, v13, v2, s37
	v_cmp_o_f32_e32 vcc, v13, v13
	v_cndmask_b32_sdwa v13, v12, v2, vcc dst_sel:DWORD dst_unused:UNUSED_PAD src0_sel:DWORD src1_sel:WORD_1
	v_lshlrev_b64 v[2:3], 1, v[0:1]
	v_mov_b32_e32 v14, s27
	v_add_co_u32_e32 v2, vcc, s26, v2
	v_addc_co_u32_e32 v3, vcc, v14, v3, vcc
	s_add_u32 s14, s14, 1
	global_store_short v[2:3], v13, off
	s_addc_u32 s15, s15, 0
	v_mov_b32_e32 v2, s14
	v_mov_b32_e32 v3, s15
	v_cmp_le_u64_e32 vcc, s[10:11], v[2:3]
	v_mov_b32_e32 v13, s35
	v_add_co_u32_e64 v0, s[6:7], s36, v0
	v_addc_co_u32_e64 v1, s[6:7], v1, v13, s[6:7]
	s_cbranch_vccnz .LBB18_44
.LBB18_33:                              ; =>This Loop Header: Depth=1
                                        ;     Child Loop BB18_37 Depth 2
                                        ;       Child Loop BB18_40 Depth 3
                                        ;         Child Loop BB18_42 Depth 4
	v_mov_b32_e32 v13, 0
	s_and_saveexec_b64 s[6:7], s[0:1]
	s_cbranch_execz .LBB18_32
; %bb.34:                               ;   in Loop: Header=BB18_33 Depth=1
	v_mov_b32_e32 v2, s12
	v_mad_u64_u32 v[2:3], s[16:17], s14, v2, v[6:7]
	s_mul_i32 s16, s15, s12
	s_mul_i32 s17, s14, s13
	s_add_i32 s17, s17, s16
	v_add_u32_e32 v3, s17, v3
	v_mul_lo_u32 v13, s34, v3
	v_mul_lo_u32 v14, s33, v2
	v_mad_u64_u32 v[2:3], s[16:17], s34, v2, 0
	s_mov_b64 s[16:17], 0
	v_mov_b32_e32 v16, v10
	v_add3_u32 v3, v3, v13, v14
	v_lshlrev_b64 v[2:3], 1, v[2:3]
	v_mov_b32_e32 v13, s9
	v_add_co_u32_e32 v14, vcc, s8, v2
	v_addc_co_u32_e32 v15, vcc, v13, v3, vcc
	v_mov_b32_e32 v13, 0
	s_branch .LBB18_37
.LBB18_35:                              ;   in Loop: Header=BB18_37 Depth=2
	s_or_b64 exec, exec, s[22:23]
.LBB18_36:                              ;   in Loop: Header=BB18_37 Depth=2
	s_or_b64 exec, exec, s[20:21]
	v_add_u32_e32 v16, 1, v16
	v_cmp_ge_i32_e32 vcc, v16, v11
	s_or_b64 s[16:17], vcc, s[16:17]
	s_andn2_b64 exec, exec, s[16:17]
	s_cbranch_execz .LBB18_31
.LBB18_37:                              ;   Parent Loop BB18_33 Depth=1
                                        ; =>  This Loop Header: Depth=2
                                        ;       Child Loop BB18_40 Depth 3
                                        ;         Child Loop BB18_42 Depth 4
	s_and_saveexec_b64 s[20:21], s[2:3]
	s_cbranch_execz .LBB18_36
; %bb.38:                               ;   in Loop: Header=BB18_37 Depth=2
	v_ashrrev_i32_e32 v17, 31, v16
	v_mul_lo_u32 v18, s30, v16
	v_mad_u64_u32 v[2:3], s[22:23], s31, v16, 0
	v_mul_lo_u32 v17, s31, v17
	s_mov_b64 s[22:23], 0
	v_mov_b32_e32 v19, v4
	v_add3_u32 v3, v3, v17, v18
	v_lshlrev_b64 v[2:3], 1, v[2:3]
	v_add_co_u32_e32 v17, vcc, v14, v2
	v_addc_co_u32_e32 v18, vcc, v15, v3, vcc
	s_branch .LBB18_40
.LBB18_39:                              ;   in Loop: Header=BB18_40 Depth=3
	s_or_b64 exec, exec, s[24:25]
	v_add_u32_e32 v19, 1, v19
	v_cmp_ge_i32_e32 vcc, v19, v5
	s_or_b64 s[22:23], vcc, s[22:23]
	s_andn2_b64 exec, exec, s[22:23]
	s_cbranch_execz .LBB18_35
.LBB18_40:                              ;   Parent Loop BB18_33 Depth=1
                                        ;     Parent Loop BB18_37 Depth=2
                                        ; =>    This Loop Header: Depth=3
                                        ;         Child Loop BB18_42 Depth 4
	s_and_saveexec_b64 s[24:25], s[4:5]
	s_cbranch_execz .LBB18_39
; %bb.41:                               ;   in Loop: Header=BB18_40 Depth=3
	v_ashrrev_i32_e32 v20, 31, v19
	v_mul_lo_u32 v21, s19, v19
	v_mad_u64_u32 v[2:3], s[28:29], s18, v19, 0
	v_mul_lo_u32 v20, s18, v20
	s_mov_b64 s[28:29], 0
	v_add3_u32 v3, v3, v20, v21
	v_lshlrev_b64 v[2:3], 1, v[2:3]
	v_add_co_u32_e32 v20, vcc, v17, v2
	v_addc_co_u32_e32 v21, vcc, v18, v3, vcc
	v_mov_b32_e32 v2, v8
.LBB18_42:                              ;   Parent Loop BB18_33 Depth=1
                                        ;     Parent Loop BB18_37 Depth=2
                                        ;       Parent Loop BB18_40 Depth=3
                                        ; =>      This Inner Loop Header: Depth=4
	v_ashrrev_i32_e32 v3, 31, v2
	v_lshlrev_b64 v[22:23], 1, v[2:3]
	v_add_u32_e32 v2, 1, v2
	v_add_co_u32_e32 v22, vcc, v20, v22
	v_addc_co_u32_e32 v23, vcc, v21, v23, vcc
	global_load_ushort v3, v[22:23], off
	v_cmp_ge_i32_e32 vcc, v2, v9
	s_or_b64 s[28:29], vcc, s[28:29]
	s_waitcnt vmcnt(0)
	v_lshlrev_b32_e32 v3, 16, v3
	v_add_f32_e32 v13, v13, v3
	s_andn2_b64 exec, exec, s[28:29]
	s_cbranch_execnz .LBB18_42
; %bb.43:                               ;   in Loop: Header=BB18_40 Depth=3
	s_or_b64 exec, exec, s[28:29]
	s_branch .LBB18_39
.LBB18_44:
	s_endpgm
	.section	.rodata,"a",@progbits
	.p2align	6, 0x0
	.amdhsa_kernel _ZN2at6native12_GLOBAL__N_137upsample_nearest3d_backward_out_frameIN3c108BFloat16EfXadL_ZNS0_46nearest_neighbor_exact_bw_compute_source_indexEfiiEEEEvPKT_mmmmmmmmPS5_fff
		.amdhsa_group_segment_fixed_size 0
		.amdhsa_private_segment_fixed_size 0
		.amdhsa_kernarg_size 352
		.amdhsa_user_sgpr_count 6
		.amdhsa_user_sgpr_private_segment_buffer 1
		.amdhsa_user_sgpr_dispatch_ptr 0
		.amdhsa_user_sgpr_queue_ptr 0
		.amdhsa_user_sgpr_kernarg_segment_ptr 1
		.amdhsa_user_sgpr_dispatch_id 0
		.amdhsa_user_sgpr_flat_scratch_init 0
		.amdhsa_user_sgpr_private_segment_size 0
		.amdhsa_uses_dynamic_stack 0
		.amdhsa_system_sgpr_private_segment_wavefront_offset 0
		.amdhsa_system_sgpr_workgroup_id_x 1
		.amdhsa_system_sgpr_workgroup_id_y 0
		.amdhsa_system_sgpr_workgroup_id_z 0
		.amdhsa_system_sgpr_workgroup_info 0
		.amdhsa_system_vgpr_workitem_id 0
		.amdhsa_next_free_vgpr 24
		.amdhsa_next_free_sgpr 38
		.amdhsa_reserve_vcc 1
		.amdhsa_reserve_flat_scratch 0
		.amdhsa_float_round_mode_32 0
		.amdhsa_float_round_mode_16_64 0
		.amdhsa_float_denorm_mode_32 3
		.amdhsa_float_denorm_mode_16_64 3
		.amdhsa_dx10_clamp 1
		.amdhsa_ieee_mode 1
		.amdhsa_fp16_overflow 0
		.amdhsa_exception_fp_ieee_invalid_op 0
		.amdhsa_exception_fp_denorm_src 0
		.amdhsa_exception_fp_ieee_div_zero 0
		.amdhsa_exception_fp_ieee_overflow 0
		.amdhsa_exception_fp_ieee_underflow 0
		.amdhsa_exception_fp_ieee_inexact 0
		.amdhsa_exception_int_div_zero 0
	.end_amdhsa_kernel
	.section	.text._ZN2at6native12_GLOBAL__N_137upsample_nearest3d_backward_out_frameIN3c108BFloat16EfXadL_ZNS0_46nearest_neighbor_exact_bw_compute_source_indexEfiiEEEEvPKT_mmmmmmmmPS5_fff,"axG",@progbits,_ZN2at6native12_GLOBAL__N_137upsample_nearest3d_backward_out_frameIN3c108BFloat16EfXadL_ZNS0_46nearest_neighbor_exact_bw_compute_source_indexEfiiEEEEvPKT_mmmmmmmmPS5_fff,comdat
.Lfunc_end18:
	.size	_ZN2at6native12_GLOBAL__N_137upsample_nearest3d_backward_out_frameIN3c108BFloat16EfXadL_ZNS0_46nearest_neighbor_exact_bw_compute_source_indexEfiiEEEEvPKT_mmmmmmmmPS5_fff, .Lfunc_end18-_ZN2at6native12_GLOBAL__N_137upsample_nearest3d_backward_out_frameIN3c108BFloat16EfXadL_ZNS0_46nearest_neighbor_exact_bw_compute_source_indexEfiiEEEEvPKT_mmmmmmmmPS5_fff
                                        ; -- End function
	.set _ZN2at6native12_GLOBAL__N_137upsample_nearest3d_backward_out_frameIN3c108BFloat16EfXadL_ZNS0_46nearest_neighbor_exact_bw_compute_source_indexEfiiEEEEvPKT_mmmmmmmmPS5_fff.num_vgpr, 24
	.set _ZN2at6native12_GLOBAL__N_137upsample_nearest3d_backward_out_frameIN3c108BFloat16EfXadL_ZNS0_46nearest_neighbor_exact_bw_compute_source_indexEfiiEEEEvPKT_mmmmmmmmPS5_fff.num_agpr, 0
	.set _ZN2at6native12_GLOBAL__N_137upsample_nearest3d_backward_out_frameIN3c108BFloat16EfXadL_ZNS0_46nearest_neighbor_exact_bw_compute_source_indexEfiiEEEEvPKT_mmmmmmmmPS5_fff.numbered_sgpr, 38
	.set _ZN2at6native12_GLOBAL__N_137upsample_nearest3d_backward_out_frameIN3c108BFloat16EfXadL_ZNS0_46nearest_neighbor_exact_bw_compute_source_indexEfiiEEEEvPKT_mmmmmmmmPS5_fff.num_named_barrier, 0
	.set _ZN2at6native12_GLOBAL__N_137upsample_nearest3d_backward_out_frameIN3c108BFloat16EfXadL_ZNS0_46nearest_neighbor_exact_bw_compute_source_indexEfiiEEEEvPKT_mmmmmmmmPS5_fff.private_seg_size, 0
	.set _ZN2at6native12_GLOBAL__N_137upsample_nearest3d_backward_out_frameIN3c108BFloat16EfXadL_ZNS0_46nearest_neighbor_exact_bw_compute_source_indexEfiiEEEEvPKT_mmmmmmmmPS5_fff.uses_vcc, 1
	.set _ZN2at6native12_GLOBAL__N_137upsample_nearest3d_backward_out_frameIN3c108BFloat16EfXadL_ZNS0_46nearest_neighbor_exact_bw_compute_source_indexEfiiEEEEvPKT_mmmmmmmmPS5_fff.uses_flat_scratch, 0
	.set _ZN2at6native12_GLOBAL__N_137upsample_nearest3d_backward_out_frameIN3c108BFloat16EfXadL_ZNS0_46nearest_neighbor_exact_bw_compute_source_indexEfiiEEEEvPKT_mmmmmmmmPS5_fff.has_dyn_sized_stack, 0
	.set _ZN2at6native12_GLOBAL__N_137upsample_nearest3d_backward_out_frameIN3c108BFloat16EfXadL_ZNS0_46nearest_neighbor_exact_bw_compute_source_indexEfiiEEEEvPKT_mmmmmmmmPS5_fff.has_recursion, 0
	.set _ZN2at6native12_GLOBAL__N_137upsample_nearest3d_backward_out_frameIN3c108BFloat16EfXadL_ZNS0_46nearest_neighbor_exact_bw_compute_source_indexEfiiEEEEvPKT_mmmmmmmmPS5_fff.has_indirect_call, 0
	.section	.AMDGPU.csdata,"",@progbits
; Kernel info:
; codeLenInByte = 5680
; TotalNumSgprs: 42
; NumVgprs: 24
; ScratchSize: 0
; MemoryBound: 0
; FloatMode: 240
; IeeeMode: 1
; LDSByteSize: 0 bytes/workgroup (compile time only)
; SGPRBlocks: 5
; VGPRBlocks: 5
; NumSGPRsForWavesPerEU: 42
; NumVGPRsForWavesPerEU: 24
; Occupancy: 10
; WaveLimiterHint : 0
; COMPUTE_PGM_RSRC2:SCRATCH_EN: 0
; COMPUTE_PGM_RSRC2:USER_SGPR: 6
; COMPUTE_PGM_RSRC2:TRAP_HANDLER: 0
; COMPUTE_PGM_RSRC2:TGID_X_EN: 1
; COMPUTE_PGM_RSRC2:TGID_Y_EN: 0
; COMPUTE_PGM_RSRC2:TGID_Z_EN: 0
; COMPUTE_PGM_RSRC2:TIDIG_COMP_CNT: 0
	.section	.text._ZN2at6native12_GLOBAL__N_137upsample_nearest3d_backward_out_frameIhlXadL_ZNS0_46nearest_neighbor_exact_bw_compute_source_indexEfiiEEEEvPKT_mmmmmmmmPS3_fff,"axG",@progbits,_ZN2at6native12_GLOBAL__N_137upsample_nearest3d_backward_out_frameIhlXadL_ZNS0_46nearest_neighbor_exact_bw_compute_source_indexEfiiEEEEvPKT_mmmmmmmmPS3_fff,comdat
	.globl	_ZN2at6native12_GLOBAL__N_137upsample_nearest3d_backward_out_frameIhlXadL_ZNS0_46nearest_neighbor_exact_bw_compute_source_indexEfiiEEEEvPKT_mmmmmmmmPS3_fff ; -- Begin function _ZN2at6native12_GLOBAL__N_137upsample_nearest3d_backward_out_frameIhlXadL_ZNS0_46nearest_neighbor_exact_bw_compute_source_indexEfiiEEEEvPKT_mmmmmmmmPS3_fff
	.p2align	8
	.type	_ZN2at6native12_GLOBAL__N_137upsample_nearest3d_backward_out_frameIhlXadL_ZNS0_46nearest_neighbor_exact_bw_compute_source_indexEfiiEEEEvPKT_mmmmmmmmPS3_fff,@function
_ZN2at6native12_GLOBAL__N_137upsample_nearest3d_backward_out_frameIhlXadL_ZNS0_46nearest_neighbor_exact_bw_compute_source_indexEfiiEEEEvPKT_mmmmmmmmPS3_fff: ; @_ZN2at6native12_GLOBAL__N_137upsample_nearest3d_backward_out_frameIhlXadL_ZNS0_46nearest_neighbor_exact_bw_compute_source_indexEfiiEEEEvPKT_mmmmmmmmPS3_fff
; %bb.0:
	s_load_dword s0, s[4:5], 0x6c
	s_load_dwordx4 s[24:27], s[4:5], 0x40
	s_load_dwordx16 s[8:23], s[4:5], 0x0
	v_mov_b32_e32 v2, 0
	v_mov_b32_e32 v1, v2
	s_waitcnt lgkmcnt(0)
	s_and_b32 s0, s0, 0xffff
	v_mov_b32_e32 v3, s6
	v_mad_u64_u32 v[0:1], s[0:1], s0, v3, v[0:1]
	s_mul_i32 s0, s22, s21
	s_mul_hi_u32 s1, s22, s20
	s_add_i32 s7, s1, s0
	s_mul_i32 s0, s23, s20
	s_mul_i32 s6, s22, s20
	s_add_i32 s7, s7, s0
	s_mul_i32 s0, s6, s13
	s_mul_hi_u32 s1, s6, s12
	s_add_i32 s0, s1, s0
	s_mul_i32 s1, s7, s12
	s_mul_i32 s2, s6, s12
	s_add_i32 s0, s0, s1
	s_mul_i32 s1, s2, s25
	s_mul_hi_u32 s3, s2, s24
	s_mul_i32 s0, s0, s24
	s_add_i32 s1, s3, s1
	s_add_i32 s1, s1, s0
	s_mul_i32 s0, s2, s24
	v_cmp_gt_u64_e32 vcc, s[0:1], v[0:1]
	s_and_saveexec_b64 s[0:1], vcc
	s_cbranch_execz .LBB19_44
; %bb.1:
	v_or_b32_e32 v3, s23, v1
	v_cmp_ne_u64_e32 vcc, 0, v[2:3]
                                        ; implicit-def: $vgpr2_vgpr3
	s_and_saveexec_b64 s[0:1], vcc
	s_xor_b64 s[2:3], exec, s[0:1]
	s_cbranch_execz .LBB19_3
; %bb.2:
	v_cvt_f32_u32_e32 v2, s22
	v_cvt_f32_u32_e32 v3, s23
	s_sub_u32 s28, 0, s22
	s_subb_u32 s29, 0, s23
	v_madmk_f32 v2, v3, 0x4f800000, v2
	v_rcp_f32_e32 v2, v2
	v_mul_f32_e32 v2, 0x5f7ffffc, v2
	v_mul_f32_e32 v3, 0x2f800000, v2
	v_trunc_f32_e32 v3, v3
	v_madmk_f32 v2, v3, 0xcf800000, v2
	v_cvt_u32_f32_e32 v3, v3
	v_cvt_u32_f32_e32 v2, v2
	v_readfirstlane_b32 s30, v3
	v_readfirstlane_b32 s0, v2
	s_mul_i32 s1, s28, s30
	s_mul_hi_u32 s33, s28, s0
	s_mul_i32 s31, s29, s0
	s_add_i32 s1, s33, s1
	s_mul_i32 s34, s28, s0
	s_add_i32 s1, s1, s31
	s_mul_i32 s33, s0, s1
	s_mul_hi_u32 s35, s0, s34
	s_mul_hi_u32 s31, s0, s1
	s_add_u32 s33, s35, s33
	s_addc_u32 s31, 0, s31
	s_mul_hi_u32 s36, s30, s34
	s_mul_i32 s34, s30, s34
	s_add_u32 s33, s33, s34
	s_mul_hi_u32 s35, s30, s1
	s_addc_u32 s31, s31, s36
	s_addc_u32 s33, s35, 0
	s_mul_i32 s1, s30, s1
	s_add_u32 s1, s31, s1
	s_addc_u32 s31, 0, s33
	s_add_u32 s33, s0, s1
	s_cselect_b64 s[0:1], -1, 0
	s_cmp_lg_u64 s[0:1], 0
	s_addc_u32 s30, s30, s31
	s_mul_i32 s0, s28, s30
	s_mul_hi_u32 s1, s28, s33
	s_add_i32 s0, s1, s0
	s_mul_i32 s29, s29, s33
	s_add_i32 s0, s0, s29
	s_mul_i32 s28, s28, s33
	s_mul_hi_u32 s29, s30, s28
	s_mul_i32 s31, s30, s28
	s_mul_i32 s35, s33, s0
	s_mul_hi_u32 s28, s33, s28
	s_mul_hi_u32 s34, s33, s0
	s_add_u32 s28, s28, s35
	s_addc_u32 s34, 0, s34
	s_add_u32 s28, s28, s31
	s_mul_hi_u32 s1, s30, s0
	s_addc_u32 s28, s34, s29
	s_addc_u32 s1, s1, 0
	s_mul_i32 s0, s30, s0
	s_add_u32 s0, s28, s0
	s_addc_u32 s28, 0, s1
	s_add_u32 s29, s33, s0
	s_cselect_b64 s[0:1], -1, 0
	s_cmp_lg_u64 s[0:1], 0
	s_addc_u32 s28, s30, s28
	v_mad_u64_u32 v[2:3], s[0:1], v0, s28, 0
	v_mul_hi_u32 v4, v0, s29
	v_add_co_u32_e32 v6, vcc, v4, v2
	v_addc_co_u32_e32 v7, vcc, 0, v3, vcc
	v_mad_u64_u32 v[2:3], s[0:1], v1, s29, 0
	v_mad_u64_u32 v[4:5], s[0:1], v1, s28, 0
	v_add_co_u32_e32 v2, vcc, v6, v2
	v_addc_co_u32_e32 v2, vcc, v7, v3, vcc
	v_addc_co_u32_e32 v3, vcc, 0, v5, vcc
	v_add_co_u32_e32 v4, vcc, v2, v4
	v_addc_co_u32_e32 v5, vcc, 0, v3, vcc
	v_mul_lo_u32 v6, s23, v4
	v_mul_lo_u32 v7, s22, v5
	v_mad_u64_u32 v[2:3], s[0:1], s22, v4, 0
	v_add3_u32 v3, v3, v7, v6
	v_sub_u32_e32 v6, v1, v3
	v_mov_b32_e32 v7, s23
	v_sub_co_u32_e32 v2, vcc, v0, v2
	v_subb_co_u32_e64 v6, s[0:1], v6, v7, vcc
	v_subrev_co_u32_e64 v7, s[0:1], s22, v2
	v_subbrev_co_u32_e64 v6, s[0:1], 0, v6, s[0:1]
	v_cmp_le_u32_e64 s[0:1], s23, v6
	v_cndmask_b32_e64 v8, 0, -1, s[0:1]
	v_cmp_le_u32_e64 s[0:1], s22, v7
	v_cndmask_b32_e64 v7, 0, -1, s[0:1]
	v_cmp_eq_u32_e64 s[0:1], s23, v6
	v_cndmask_b32_e64 v6, v8, v7, s[0:1]
	v_add_co_u32_e64 v7, s[0:1], 2, v4
	v_addc_co_u32_e64 v8, s[0:1], 0, v5, s[0:1]
	v_add_co_u32_e64 v9, s[0:1], 1, v4
	v_addc_co_u32_e64 v10, s[0:1], 0, v5, s[0:1]
	v_subb_co_u32_e32 v3, vcc, v1, v3, vcc
	v_cmp_ne_u32_e64 s[0:1], 0, v6
	v_cmp_le_u32_e32 vcc, s23, v3
	v_cndmask_b32_e64 v6, v10, v8, s[0:1]
	v_cndmask_b32_e64 v8, 0, -1, vcc
	v_cmp_le_u32_e32 vcc, s22, v2
	v_cndmask_b32_e64 v2, 0, -1, vcc
	v_cmp_eq_u32_e32 vcc, s23, v3
	v_cndmask_b32_e32 v2, v8, v2, vcc
	v_cmp_ne_u32_e32 vcc, 0, v2
	v_cndmask_b32_e64 v2, v9, v7, s[0:1]
	v_cndmask_b32_e32 v3, v5, v6, vcc
	v_cndmask_b32_e32 v2, v4, v2, vcc
.LBB19_3:
	s_andn2_saveexec_b64 s[0:1], s[2:3]
	s_cbranch_execz .LBB19_5
; %bb.4:
	v_cvt_f32_u32_e32 v2, s22
	s_sub_i32 s2, 0, s22
	v_rcp_iflag_f32_e32 v2, v2
	v_mul_f32_e32 v2, 0x4f7ffffe, v2
	v_cvt_u32_f32_e32 v2, v2
	v_mul_lo_u32 v3, s2, v2
	v_mul_hi_u32 v3, v2, v3
	v_add_u32_e32 v2, v2, v3
	v_mul_hi_u32 v2, v0, v2
	v_mul_lo_u32 v3, v2, s22
	v_add_u32_e32 v4, 1, v2
	v_sub_u32_e32 v3, v0, v3
	v_subrev_u32_e32 v5, s22, v3
	v_cmp_le_u32_e32 vcc, s22, v3
	v_cndmask_b32_e32 v3, v3, v5, vcc
	v_cndmask_b32_e32 v2, v2, v4, vcc
	v_add_u32_e32 v4, 1, v2
	v_cmp_le_u32_e32 vcc, s22, v3
	v_cndmask_b32_e32 v2, v2, v4, vcc
	v_mov_b32_e32 v3, 0
.LBB19_5:
	s_or_b64 exec, exec, s[0:1]
	v_or_b32_e32 v5, s25, v3
	v_mov_b32_e32 v4, 0
	v_cmp_ne_u64_e32 vcc, 0, v[4:5]
                                        ; implicit-def: $vgpr4_vgpr5
	s_and_saveexec_b64 s[0:1], vcc
	s_xor_b64 s[2:3], exec, s[0:1]
	s_cbranch_execz .LBB19_7
; %bb.6:
	v_cvt_f32_u32_e32 v4, s24
	v_cvt_f32_u32_e32 v5, s25
	s_sub_u32 s28, 0, s24
	s_subb_u32 s29, 0, s25
	v_madmk_f32 v4, v5, 0x4f800000, v4
	v_rcp_f32_e32 v4, v4
	v_mul_f32_e32 v4, 0x5f7ffffc, v4
	v_mul_f32_e32 v5, 0x2f800000, v4
	v_trunc_f32_e32 v5, v5
	v_madmk_f32 v4, v5, 0xcf800000, v4
	v_cvt_u32_f32_e32 v5, v5
	v_cvt_u32_f32_e32 v4, v4
	v_readfirstlane_b32 s30, v5
	v_readfirstlane_b32 s0, v4
	s_mul_i32 s1, s28, s30
	s_mul_hi_u32 s33, s28, s0
	s_mul_i32 s31, s29, s0
	s_add_i32 s1, s33, s1
	s_mul_i32 s34, s28, s0
	s_add_i32 s1, s1, s31
	s_mul_i32 s33, s0, s1
	s_mul_hi_u32 s35, s0, s34
	s_mul_hi_u32 s31, s0, s1
	s_add_u32 s33, s35, s33
	s_addc_u32 s31, 0, s31
	s_mul_hi_u32 s36, s30, s34
	s_mul_i32 s34, s30, s34
	s_add_u32 s33, s33, s34
	s_mul_hi_u32 s35, s30, s1
	s_addc_u32 s31, s31, s36
	s_addc_u32 s33, s35, 0
	s_mul_i32 s1, s30, s1
	s_add_u32 s1, s31, s1
	s_addc_u32 s31, 0, s33
	s_add_u32 s33, s0, s1
	s_cselect_b64 s[0:1], -1, 0
	s_cmp_lg_u64 s[0:1], 0
	s_addc_u32 s30, s30, s31
	s_mul_i32 s0, s28, s30
	s_mul_hi_u32 s1, s28, s33
	s_add_i32 s0, s1, s0
	s_mul_i32 s29, s29, s33
	s_add_i32 s0, s0, s29
	s_mul_i32 s28, s28, s33
	s_mul_hi_u32 s29, s30, s28
	s_mul_i32 s31, s30, s28
	s_mul_i32 s35, s33, s0
	s_mul_hi_u32 s28, s33, s28
	s_mul_hi_u32 s34, s33, s0
	s_add_u32 s28, s28, s35
	s_addc_u32 s34, 0, s34
	s_add_u32 s28, s28, s31
	s_mul_hi_u32 s1, s30, s0
	s_addc_u32 s28, s34, s29
	s_addc_u32 s1, s1, 0
	s_mul_i32 s0, s30, s0
	s_add_u32 s0, s28, s0
	s_addc_u32 s28, 0, s1
	s_add_u32 s29, s33, s0
	s_cselect_b64 s[0:1], -1, 0
	s_cmp_lg_u64 s[0:1], 0
	s_addc_u32 s28, s30, s28
	v_mad_u64_u32 v[4:5], s[0:1], v2, s28, 0
	v_mul_hi_u32 v6, v2, s29
	v_add_co_u32_e32 v8, vcc, v6, v4
	v_addc_co_u32_e32 v9, vcc, 0, v5, vcc
	v_mad_u64_u32 v[4:5], s[0:1], v3, s29, 0
	v_mad_u64_u32 v[6:7], s[0:1], v3, s28, 0
	v_add_co_u32_e32 v4, vcc, v8, v4
	v_addc_co_u32_e32 v4, vcc, v9, v5, vcc
	v_addc_co_u32_e32 v5, vcc, 0, v7, vcc
	v_add_co_u32_e32 v6, vcc, v4, v6
	v_addc_co_u32_e32 v7, vcc, 0, v5, vcc
	v_mul_lo_u32 v8, s25, v6
	v_mul_lo_u32 v9, s24, v7
	v_mad_u64_u32 v[4:5], s[0:1], s24, v6, 0
	v_add3_u32 v5, v5, v9, v8
	v_sub_u32_e32 v8, v3, v5
	v_mov_b32_e32 v9, s25
	v_sub_co_u32_e32 v2, vcc, v2, v4
	v_subb_co_u32_e64 v4, s[0:1], v8, v9, vcc
	v_subrev_co_u32_e64 v8, s[0:1], s24, v2
	v_subbrev_co_u32_e64 v4, s[0:1], 0, v4, s[0:1]
	v_cmp_le_u32_e64 s[0:1], s25, v4
	v_cndmask_b32_e64 v9, 0, -1, s[0:1]
	v_cmp_le_u32_e64 s[0:1], s24, v8
	v_cndmask_b32_e64 v8, 0, -1, s[0:1]
	v_cmp_eq_u32_e64 s[0:1], s25, v4
	v_cndmask_b32_e64 v4, v9, v8, s[0:1]
	v_add_co_u32_e64 v8, s[0:1], 2, v6
	v_subb_co_u32_e32 v3, vcc, v3, v5, vcc
	v_addc_co_u32_e64 v9, s[0:1], 0, v7, s[0:1]
	v_cmp_le_u32_e32 vcc, s25, v3
	v_add_co_u32_e64 v10, s[0:1], 1, v6
	v_cndmask_b32_e64 v5, 0, -1, vcc
	v_cmp_le_u32_e32 vcc, s24, v2
	v_addc_co_u32_e64 v11, s[0:1], 0, v7, s[0:1]
	v_cndmask_b32_e64 v2, 0, -1, vcc
	v_cmp_eq_u32_e32 vcc, s25, v3
	v_cmp_ne_u32_e64 s[0:1], 0, v4
	v_cndmask_b32_e32 v2, v5, v2, vcc
	v_cndmask_b32_e64 v4, v11, v9, s[0:1]
	v_cmp_ne_u32_e32 vcc, 0, v2
	v_cndmask_b32_e64 v2, v10, v8, s[0:1]
	v_cndmask_b32_e32 v5, v7, v4, vcc
	v_cndmask_b32_e32 v4, v6, v2, vcc
                                        ; implicit-def: $vgpr2_vgpr3
.LBB19_7:
	s_andn2_saveexec_b64 s[0:1], s[2:3]
	s_cbranch_execz .LBB19_9
; %bb.8:
	v_cvt_f32_u32_e32 v3, s24
	s_sub_i32 s2, 0, s24
	v_rcp_iflag_f32_e32 v3, v3
	v_mul_f32_e32 v3, 0x4f7ffffe, v3
	v_cvt_u32_f32_e32 v3, v3
	v_mul_lo_u32 v4, s2, v3
	v_mul_hi_u32 v4, v3, v4
	v_add_u32_e32 v3, v3, v4
	v_mul_hi_u32 v3, v2, v3
	v_mul_lo_u32 v4, v3, s24
	v_add_u32_e32 v5, 1, v3
	v_sub_u32_e32 v2, v2, v4
	v_subrev_u32_e32 v4, s24, v2
	v_cmp_le_u32_e32 vcc, s24, v2
	v_cndmask_b32_e32 v2, v2, v4, vcc
	v_cndmask_b32_e32 v3, v3, v5, vcc
	v_add_u32_e32 v4, 1, v3
	v_cmp_le_u32_e32 vcc, s24, v2
	v_cndmask_b32_e32 v4, v3, v4, vcc
	v_mov_b32_e32 v5, 0
.LBB19_9:
	s_or_b64 exec, exec, s[0:1]
	v_or_b32_e32 v3, s21, v5
	v_mov_b32_e32 v2, 0
	v_cmp_ne_u64_e32 vcc, 0, v[2:3]
                                        ; implicit-def: $vgpr2_vgpr3
	s_and_saveexec_b64 s[0:1], vcc
	s_xor_b64 s[2:3], exec, s[0:1]
	s_cbranch_execz .LBB19_11
; %bb.10:
	v_cvt_f32_u32_e32 v2, s20
	v_cvt_f32_u32_e32 v3, s21
	s_sub_u32 s28, 0, s20
	s_subb_u32 s29, 0, s21
	v_madmk_f32 v2, v3, 0x4f800000, v2
	v_rcp_f32_e32 v2, v2
	v_mul_f32_e32 v2, 0x5f7ffffc, v2
	v_mul_f32_e32 v3, 0x2f800000, v2
	v_trunc_f32_e32 v3, v3
	v_madmk_f32 v2, v3, 0xcf800000, v2
	v_cvt_u32_f32_e32 v3, v3
	v_cvt_u32_f32_e32 v2, v2
	v_readfirstlane_b32 s30, v3
	v_readfirstlane_b32 s0, v2
	s_mul_i32 s1, s28, s30
	s_mul_hi_u32 s33, s28, s0
	s_mul_i32 s31, s29, s0
	s_add_i32 s1, s33, s1
	s_mul_i32 s34, s28, s0
	s_add_i32 s1, s1, s31
	s_mul_i32 s33, s0, s1
	s_mul_hi_u32 s35, s0, s34
	s_mul_hi_u32 s31, s0, s1
	s_add_u32 s33, s35, s33
	s_addc_u32 s31, 0, s31
	s_mul_hi_u32 s36, s30, s34
	s_mul_i32 s34, s30, s34
	s_add_u32 s33, s33, s34
	s_mul_hi_u32 s35, s30, s1
	s_addc_u32 s31, s31, s36
	s_addc_u32 s33, s35, 0
	s_mul_i32 s1, s30, s1
	s_add_u32 s1, s31, s1
	s_addc_u32 s31, 0, s33
	s_add_u32 s33, s0, s1
	s_cselect_b64 s[0:1], -1, 0
	s_cmp_lg_u64 s[0:1], 0
	s_addc_u32 s30, s30, s31
	s_mul_i32 s0, s28, s30
	s_mul_hi_u32 s1, s28, s33
	s_add_i32 s0, s1, s0
	s_mul_i32 s29, s29, s33
	s_add_i32 s0, s0, s29
	s_mul_i32 s28, s28, s33
	s_mul_hi_u32 s29, s30, s28
	s_mul_i32 s31, s30, s28
	s_mul_i32 s35, s33, s0
	s_mul_hi_u32 s28, s33, s28
	s_mul_hi_u32 s34, s33, s0
	s_add_u32 s28, s28, s35
	s_addc_u32 s34, 0, s34
	s_add_u32 s28, s28, s31
	s_mul_hi_u32 s1, s30, s0
	s_addc_u32 s28, s34, s29
	s_addc_u32 s1, s1, 0
	s_mul_i32 s0, s30, s0
	s_add_u32 s0, s28, s0
	s_addc_u32 s28, 0, s1
	s_add_u32 s29, s33, s0
	s_cselect_b64 s[0:1], -1, 0
	s_cmp_lg_u64 s[0:1], 0
	s_addc_u32 s28, s30, s28
	v_mad_u64_u32 v[2:3], s[0:1], v4, s28, 0
	v_mul_hi_u32 v6, v4, s29
	v_add_co_u32_e32 v8, vcc, v6, v2
	v_addc_co_u32_e32 v9, vcc, 0, v3, vcc
	v_mad_u64_u32 v[2:3], s[0:1], v5, s29, 0
	v_mad_u64_u32 v[6:7], s[0:1], v5, s28, 0
	v_add_co_u32_e32 v2, vcc, v8, v2
	v_addc_co_u32_e32 v2, vcc, v9, v3, vcc
	v_addc_co_u32_e32 v3, vcc, 0, v7, vcc
	v_add_co_u32_e32 v2, vcc, v2, v6
	v_addc_co_u32_e32 v3, vcc, 0, v3, vcc
	v_mul_lo_u32 v6, s21, v2
	v_mul_lo_u32 v7, s20, v3
	v_mad_u64_u32 v[2:3], s[0:1], s20, v2, 0
	v_add3_u32 v3, v3, v7, v6
	v_sub_u32_e32 v6, v5, v3
	v_mov_b32_e32 v7, s21
	v_sub_co_u32_e32 v2, vcc, v4, v2
	v_subb_co_u32_e64 v4, s[0:1], v6, v7, vcc
	v_subrev_co_u32_e64 v6, s[0:1], s20, v2
	v_subbrev_co_u32_e64 v4, s[0:1], 0, v4, s[0:1]
	v_cmp_le_u32_e64 s[0:1], s21, v4
	v_subb_co_u32_e32 v3, vcc, v5, v3, vcc
	v_cndmask_b32_e64 v7, 0, -1, s[0:1]
	v_cmp_le_u32_e64 s[0:1], s20, v6
	v_cmp_le_u32_e32 vcc, s21, v3
	v_cndmask_b32_e64 v8, 0, -1, s[0:1]
	v_cmp_eq_u32_e64 s[0:1], s21, v4
	v_cndmask_b32_e64 v5, 0, -1, vcc
	v_cmp_le_u32_e32 vcc, s20, v2
	v_cndmask_b32_e64 v4, v7, v8, s[0:1]
	v_cndmask_b32_e64 v8, 0, -1, vcc
	v_cmp_eq_u32_e32 vcc, s21, v3
	v_subrev_co_u32_e64 v7, s[0:1], s20, v6
	v_cndmask_b32_e32 v3, v5, v8, vcc
	v_cmp_ne_u32_e32 vcc, 0, v4
	v_cndmask_b32_e32 v4, v6, v7, vcc
	v_cmp_ne_u32_e32 vcc, 0, v3
	v_cndmask_b32_e32 v2, v2, v4, vcc
                                        ; implicit-def: $vgpr4_vgpr5
.LBB19_11:
	s_andn2_saveexec_b64 s[0:1], s[2:3]
	s_cbranch_execz .LBB19_13
; %bb.12:
	v_cvt_f32_u32_e32 v2, s20
	s_sub_i32 s2, 0, s20
	v_rcp_iflag_f32_e32 v2, v2
	v_mul_f32_e32 v2, 0x4f7ffffe, v2
	v_cvt_u32_f32_e32 v2, v2
	v_mul_lo_u32 v3, s2, v2
	v_mul_hi_u32 v3, v2, v3
	v_add_u32_e32 v2, v2, v3
	v_mul_hi_u32 v2, v4, v2
	v_mul_lo_u32 v2, v2, s20
	v_sub_u32_e32 v2, v4, v2
	v_subrev_u32_e32 v3, s20, v2
	v_cmp_le_u32_e32 vcc, s20, v2
	v_cndmask_b32_e32 v2, v2, v3, vcc
	v_subrev_u32_e32 v3, s20, v2
	v_cmp_le_u32_e32 vcc, s20, v2
	v_cndmask_b32_e32 v2, v2, v3, vcc
.LBB19_13:
	s_or_b64 exec, exec, s[0:1]
	v_or_b32_e32 v4, s25, v1
	v_mov_b32_e32 v3, 0
	v_cmp_ne_u64_e32 vcc, 0, v[3:4]
                                        ; implicit-def: $vgpr3_vgpr4
	s_and_saveexec_b64 s[0:1], vcc
	s_xor_b64 s[2:3], exec, s[0:1]
	s_cbranch_execz .LBB19_15
; %bb.14:
	v_cvt_f32_u32_e32 v3, s24
	v_cvt_f32_u32_e32 v4, s25
	s_sub_u32 s20, 0, s24
	s_subb_u32 s21, 0, s25
	v_madmk_f32 v3, v4, 0x4f800000, v3
	v_rcp_f32_e32 v3, v3
	v_mul_f32_e32 v3, 0x5f7ffffc, v3
	v_mul_f32_e32 v4, 0x2f800000, v3
	v_trunc_f32_e32 v4, v4
	v_madmk_f32 v3, v4, 0xcf800000, v3
	v_cvt_u32_f32_e32 v4, v4
	v_cvt_u32_f32_e32 v3, v3
	v_readfirstlane_b32 s28, v4
	v_readfirstlane_b32 s0, v3
	s_mul_i32 s1, s20, s28
	s_mul_hi_u32 s30, s20, s0
	s_mul_i32 s29, s21, s0
	s_add_i32 s1, s30, s1
	s_mul_i32 s31, s20, s0
	s_add_i32 s1, s1, s29
	s_mul_i32 s30, s0, s1
	s_mul_hi_u32 s33, s0, s31
	s_mul_hi_u32 s29, s0, s1
	s_add_u32 s30, s33, s30
	s_addc_u32 s29, 0, s29
	s_mul_hi_u32 s34, s28, s31
	s_mul_i32 s31, s28, s31
	s_add_u32 s30, s30, s31
	s_mul_hi_u32 s33, s28, s1
	s_addc_u32 s29, s29, s34
	s_addc_u32 s30, s33, 0
	s_mul_i32 s1, s28, s1
	s_add_u32 s1, s29, s1
	s_addc_u32 s29, 0, s30
	s_add_u32 s30, s0, s1
	s_cselect_b64 s[0:1], -1, 0
	s_cmp_lg_u64 s[0:1], 0
	s_addc_u32 s28, s28, s29
	s_mul_i32 s0, s20, s28
	s_mul_hi_u32 s1, s20, s30
	s_add_i32 s0, s1, s0
	s_mul_i32 s21, s21, s30
	s_add_i32 s0, s0, s21
	s_mul_i32 s20, s20, s30
	s_mul_hi_u32 s21, s28, s20
	s_mul_i32 s29, s28, s20
	s_mul_i32 s33, s30, s0
	s_mul_hi_u32 s20, s30, s20
	s_mul_hi_u32 s31, s30, s0
	s_add_u32 s20, s20, s33
	s_addc_u32 s31, 0, s31
	s_add_u32 s20, s20, s29
	s_mul_hi_u32 s1, s28, s0
	s_addc_u32 s20, s31, s21
	s_addc_u32 s1, s1, 0
	s_mul_i32 s0, s28, s0
	s_add_u32 s0, s20, s0
	s_addc_u32 s20, 0, s1
	s_add_u32 s21, s30, s0
	s_cselect_b64 s[0:1], -1, 0
	s_cmp_lg_u64 s[0:1], 0
	s_addc_u32 s20, s28, s20
	v_mad_u64_u32 v[3:4], s[0:1], v0, s20, 0
	v_mul_hi_u32 v5, v0, s21
	v_add_co_u32_e32 v7, vcc, v5, v3
	v_addc_co_u32_e32 v8, vcc, 0, v4, vcc
	v_mad_u64_u32 v[3:4], s[0:1], v1, s21, 0
	v_mad_u64_u32 v[5:6], s[0:1], v1, s20, 0
	v_add_co_u32_e32 v3, vcc, v7, v3
	v_addc_co_u32_e32 v3, vcc, v8, v4, vcc
	v_addc_co_u32_e32 v4, vcc, 0, v6, vcc
	v_add_co_u32_e32 v5, vcc, v3, v5
	v_addc_co_u32_e32 v6, vcc, 0, v4, vcc
	v_mul_lo_u32 v7, s25, v5
	v_mul_lo_u32 v8, s24, v6
	v_mad_u64_u32 v[3:4], s[0:1], s24, v5, 0
	v_add3_u32 v4, v4, v8, v7
	v_sub_u32_e32 v7, v1, v4
	v_mov_b32_e32 v8, s25
	v_sub_co_u32_e32 v3, vcc, v0, v3
	v_subb_co_u32_e64 v7, s[0:1], v7, v8, vcc
	v_subrev_co_u32_e64 v8, s[0:1], s24, v3
	v_subbrev_co_u32_e64 v7, s[0:1], 0, v7, s[0:1]
	v_cmp_le_u32_e64 s[0:1], s25, v7
	v_cndmask_b32_e64 v9, 0, -1, s[0:1]
	v_cmp_le_u32_e64 s[0:1], s24, v8
	v_cndmask_b32_e64 v8, 0, -1, s[0:1]
	v_cmp_eq_u32_e64 s[0:1], s25, v7
	v_cndmask_b32_e64 v7, v9, v8, s[0:1]
	v_add_co_u32_e64 v8, s[0:1], 2, v5
	v_addc_co_u32_e64 v9, s[0:1], 0, v6, s[0:1]
	v_add_co_u32_e64 v10, s[0:1], 1, v5
	v_addc_co_u32_e64 v11, s[0:1], 0, v6, s[0:1]
	v_subb_co_u32_e32 v4, vcc, v1, v4, vcc
	v_cmp_ne_u32_e64 s[0:1], 0, v7
	v_cmp_le_u32_e32 vcc, s25, v4
	v_cndmask_b32_e64 v7, v11, v9, s[0:1]
	v_cndmask_b32_e64 v9, 0, -1, vcc
	v_cmp_le_u32_e32 vcc, s24, v3
	v_cndmask_b32_e64 v3, 0, -1, vcc
	v_cmp_eq_u32_e32 vcc, s25, v4
	v_cndmask_b32_e32 v3, v9, v3, vcc
	v_cmp_ne_u32_e32 vcc, 0, v3
	v_cndmask_b32_e64 v3, v10, v8, s[0:1]
	v_cndmask_b32_e32 v4, v6, v7, vcc
	v_cndmask_b32_e32 v3, v5, v3, vcc
.LBB19_15:
	s_andn2_saveexec_b64 s[0:1], s[2:3]
	s_cbranch_execz .LBB19_17
; %bb.16:
	v_cvt_f32_u32_e32 v3, s24
	s_sub_i32 s2, 0, s24
	v_rcp_iflag_f32_e32 v3, v3
	v_mul_f32_e32 v3, 0x4f7ffffe, v3
	v_cvt_u32_f32_e32 v3, v3
	v_mul_lo_u32 v4, s2, v3
	v_mul_hi_u32 v4, v3, v4
	v_add_u32_e32 v3, v3, v4
	v_mul_hi_u32 v3, v0, v3
	v_mul_lo_u32 v4, v3, s24
	v_add_u32_e32 v5, 1, v3
	v_sub_u32_e32 v4, v0, v4
	v_subrev_u32_e32 v6, s24, v4
	v_cmp_le_u32_e32 vcc, s24, v4
	v_cndmask_b32_e32 v4, v4, v6, vcc
	v_cndmask_b32_e32 v3, v3, v5, vcc
	v_add_u32_e32 v5, 1, v3
	v_cmp_le_u32_e32 vcc, s24, v4
	v_cndmask_b32_e32 v3, v3, v5, vcc
	v_mov_b32_e32 v4, 0
.LBB19_17:
	s_or_b64 exec, exec, s[0:1]
	v_or_b32_e32 v6, s23, v4
	v_mov_b32_e32 v5, 0
	v_cmp_ne_u64_e32 vcc, 0, v[5:6]
                                        ; implicit-def: $vgpr5_vgpr6
	s_and_saveexec_b64 s[0:1], vcc
	s_xor_b64 s[2:3], exec, s[0:1]
	s_cbranch_execnz .LBB19_20
; %bb.18:
	s_andn2_saveexec_b64 s[0:1], s[2:3]
	s_cbranch_execnz .LBB19_21
.LBB19_19:
	s_or_b64 exec, exec, s[0:1]
	s_cmp_eq_u64 s[10:11], 0
	s_cbranch_scc0 .LBB19_22
	s_branch .LBB19_44
.LBB19_20:
	v_cvt_f32_u32_e32 v5, s22
	v_cvt_f32_u32_e32 v6, s23
	s_sub_u32 s20, 0, s22
	s_subb_u32 s21, 0, s23
	v_madmk_f32 v5, v6, 0x4f800000, v5
	v_rcp_f32_e32 v5, v5
	v_mul_f32_e32 v5, 0x5f7ffffc, v5
	v_mul_f32_e32 v6, 0x2f800000, v5
	v_trunc_f32_e32 v6, v6
	v_madmk_f32 v5, v6, 0xcf800000, v5
	v_cvt_u32_f32_e32 v6, v6
	v_cvt_u32_f32_e32 v5, v5
	v_readfirstlane_b32 s28, v6
	v_readfirstlane_b32 s0, v5
	s_mul_i32 s1, s20, s28
	s_mul_hi_u32 s30, s20, s0
	s_mul_i32 s29, s21, s0
	s_add_i32 s1, s30, s1
	s_mul_i32 s31, s20, s0
	s_add_i32 s1, s1, s29
	s_mul_i32 s30, s0, s1
	s_mul_hi_u32 s33, s0, s31
	s_mul_hi_u32 s29, s0, s1
	s_add_u32 s30, s33, s30
	s_addc_u32 s29, 0, s29
	s_mul_hi_u32 s34, s28, s31
	s_mul_i32 s31, s28, s31
	s_add_u32 s30, s30, s31
	s_mul_hi_u32 s33, s28, s1
	s_addc_u32 s29, s29, s34
	s_addc_u32 s30, s33, 0
	s_mul_i32 s1, s28, s1
	s_add_u32 s1, s29, s1
	s_addc_u32 s29, 0, s30
	s_add_u32 s30, s0, s1
	s_cselect_b64 s[0:1], -1, 0
	s_cmp_lg_u64 s[0:1], 0
	s_addc_u32 s28, s28, s29
	s_mul_i32 s0, s20, s28
	s_mul_hi_u32 s1, s20, s30
	s_add_i32 s0, s1, s0
	s_mul_i32 s21, s21, s30
	s_add_i32 s0, s0, s21
	s_mul_i32 s20, s20, s30
	s_mul_hi_u32 s21, s28, s20
	s_mul_i32 s29, s28, s20
	s_mul_i32 s33, s30, s0
	s_mul_hi_u32 s20, s30, s20
	s_mul_hi_u32 s31, s30, s0
	s_add_u32 s20, s20, s33
	s_addc_u32 s31, 0, s31
	s_add_u32 s20, s20, s29
	s_mul_hi_u32 s1, s28, s0
	s_addc_u32 s20, s31, s21
	s_addc_u32 s1, s1, 0
	s_mul_i32 s0, s28, s0
	s_add_u32 s0, s20, s0
	s_addc_u32 s20, 0, s1
	s_add_u32 s21, s30, s0
	s_cselect_b64 s[0:1], -1, 0
	s_cmp_lg_u64 s[0:1], 0
	s_addc_u32 s20, s28, s20
	v_mad_u64_u32 v[5:6], s[0:1], v3, s20, 0
	v_mul_hi_u32 v7, v3, s21
	v_add_co_u32_e32 v9, vcc, v7, v5
	v_addc_co_u32_e32 v10, vcc, 0, v6, vcc
	v_mad_u64_u32 v[5:6], s[0:1], v4, s21, 0
	v_mad_u64_u32 v[7:8], s[0:1], v4, s20, 0
	v_add_co_u32_e32 v5, vcc, v9, v5
	v_addc_co_u32_e32 v5, vcc, v10, v6, vcc
	v_addc_co_u32_e32 v6, vcc, 0, v8, vcc
	v_add_co_u32_e32 v5, vcc, v5, v7
	v_addc_co_u32_e32 v6, vcc, 0, v6, vcc
	v_mul_lo_u32 v7, s23, v5
	v_mul_lo_u32 v8, s22, v6
	v_mad_u64_u32 v[5:6], s[0:1], s22, v5, 0
	v_add3_u32 v6, v6, v8, v7
	v_sub_u32_e32 v7, v4, v6
	v_mov_b32_e32 v8, s23
	v_sub_co_u32_e32 v5, vcc, v3, v5
	v_subb_co_u32_e64 v7, s[0:1], v7, v8, vcc
	v_subrev_co_u32_e64 v8, s[0:1], s22, v5
	v_subbrev_co_u32_e64 v7, s[0:1], 0, v7, s[0:1]
	v_cmp_le_u32_e64 s[0:1], s23, v7
	v_subb_co_u32_e32 v4, vcc, v4, v6, vcc
	v_cndmask_b32_e64 v9, 0, -1, s[0:1]
	v_cmp_le_u32_e64 s[0:1], s22, v8
	v_cmp_le_u32_e32 vcc, s23, v4
	v_cndmask_b32_e64 v10, 0, -1, s[0:1]
	v_cmp_eq_u32_e64 s[0:1], s23, v7
	v_cndmask_b32_e64 v6, 0, -1, vcc
	v_cmp_le_u32_e32 vcc, s22, v5
	v_cndmask_b32_e64 v7, v9, v10, s[0:1]
	v_cndmask_b32_e64 v10, 0, -1, vcc
	v_cmp_eq_u32_e32 vcc, s23, v4
	v_subrev_co_u32_e64 v9, s[0:1], s22, v8
	v_cndmask_b32_e32 v4, v6, v10, vcc
	v_cmp_ne_u32_e32 vcc, 0, v7
	v_cndmask_b32_e32 v6, v8, v9, vcc
	v_cmp_ne_u32_e32 vcc, 0, v4
	v_cndmask_b32_e32 v5, v5, v6, vcc
	s_andn2_saveexec_b64 s[0:1], s[2:3]
	s_cbranch_execz .LBB19_19
.LBB19_21:
	v_cvt_f32_u32_e32 v4, s22
	s_sub_i32 s2, 0, s22
	v_rcp_iflag_f32_e32 v4, v4
	v_mul_f32_e32 v4, 0x4f7ffffe, v4
	v_cvt_u32_f32_e32 v4, v4
	v_mul_lo_u32 v5, s2, v4
	v_mul_hi_u32 v5, v4, v5
	v_add_u32_e32 v4, v4, v5
	v_mul_hi_u32 v4, v3, v4
	v_mul_lo_u32 v4, v4, s22
	v_sub_u32_e32 v4, v3, v4
	v_subrev_u32_e32 v5, s22, v4
	v_cmp_le_u32_e32 vcc, s22, v4
	v_cndmask_b32_e32 v4, v4, v5, vcc
	v_subrev_u32_e32 v5, s22, v4
	v_cmp_le_u32_e32 vcc, s22, v4
	v_cndmask_b32_e32 v5, v4, v5, vcc
	s_or_b64 exec, exec, s[0:1]
	s_cmp_eq_u64 s[10:11], 0
	s_cbranch_scc1 .LBB19_44
.LBB19_22:
	s_mul_i32 s0, s6, s25
	s_mul_hi_u32 s1, s6, s24
	s_add_i32 s0, s1, s0
	s_mul_i32 s7, s7, s24
	s_add_i32 s22, s0, s7
	v_or_b32_e32 v7, s22, v1
	v_mov_b32_e32 v6, 0
	v_cmp_ne_u64_e32 vcc, 0, v[6:7]
	s_mul_i32 s23, s6, s24
                                        ; implicit-def: $vgpr8_vgpr9
	s_and_saveexec_b64 s[0:1], vcc
	s_xor_b64 s[2:3], exec, s[0:1]
	s_cbranch_execz .LBB19_24
; %bb.23:
	s_ashr_i32 s6, s22, 31
	s_add_u32 s0, s23, s6
	s_mov_b32 s7, s6
	s_addc_u32 s1, s22, s6
	s_xor_b64 s[20:21], s[0:1], s[6:7]
	v_cvt_f32_u32_e32 v4, s20
	v_cvt_f32_u32_e32 v6, s21
	s_sub_u32 s7, 0, s20
	s_subb_u32 s25, 0, s21
	v_madmk_f32 v4, v6, 0x4f800000, v4
	v_rcp_f32_e32 v4, v4
	v_mul_f32_e32 v4, 0x5f7ffffc, v4
	v_mul_f32_e32 v6, 0x2f800000, v4
	v_trunc_f32_e32 v6, v6
	v_madmk_f32 v4, v6, 0xcf800000, v4
	v_cvt_u32_f32_e32 v6, v6
	v_cvt_u32_f32_e32 v4, v4
	v_readfirstlane_b32 s28, v6
	v_readfirstlane_b32 s0, v4
	s_mul_i32 s1, s7, s28
	s_mul_hi_u32 s30, s7, s0
	s_mul_i32 s29, s25, s0
	s_add_i32 s1, s30, s1
	s_add_i32 s1, s1, s29
	s_mul_i32 s31, s7, s0
	s_mul_i32 s30, s0, s1
	s_mul_hi_u32 s33, s0, s31
	s_mul_hi_u32 s29, s0, s1
	s_add_u32 s30, s33, s30
	s_addc_u32 s29, 0, s29
	s_mul_hi_u32 s34, s28, s31
	s_mul_i32 s31, s28, s31
	s_add_u32 s30, s30, s31
	s_mul_hi_u32 s33, s28, s1
	s_addc_u32 s29, s29, s34
	s_addc_u32 s30, s33, 0
	s_mul_i32 s1, s28, s1
	s_add_u32 s1, s29, s1
	s_addc_u32 s29, 0, s30
	s_add_u32 s30, s0, s1
	s_cselect_b64 s[0:1], -1, 0
	s_cmp_lg_u64 s[0:1], 0
	s_addc_u32 s28, s28, s29
	s_mul_i32 s0, s7, s28
	s_mul_hi_u32 s1, s7, s30
	s_add_i32 s0, s1, s0
	s_mul_i32 s25, s25, s30
	s_add_i32 s0, s0, s25
	s_mul_i32 s7, s7, s30
	s_mul_hi_u32 s25, s28, s7
	s_mul_i32 s29, s28, s7
	s_mul_i32 s33, s30, s0
	s_mul_hi_u32 s7, s30, s7
	s_mul_hi_u32 s31, s30, s0
	s_add_u32 s7, s7, s33
	s_addc_u32 s31, 0, s31
	s_add_u32 s7, s7, s29
	s_mul_hi_u32 s1, s28, s0
	s_addc_u32 s7, s31, s25
	s_addc_u32 s1, s1, 0
	s_mul_i32 s0, s28, s0
	s_add_u32 s0, s7, s0
	s_addc_u32 s7, 0, s1
	s_add_u32 s25, s30, s0
	s_cselect_b64 s[0:1], -1, 0
	v_ashrrev_i32_e32 v4, 31, v1
	s_cmp_lg_u64 s[0:1], 0
	v_add_co_u32_e32 v6, vcc, v0, v4
	s_addc_u32 s7, s28, s7
	v_xor_b32_e32 v10, v6, v4
	v_mad_u64_u32 v[6:7], s[0:1], v10, s7, 0
	v_mul_hi_u32 v9, v10, s25
	v_addc_co_u32_e32 v8, vcc, v1, v4, vcc
	v_xor_b32_e32 v11, v8, v4
	v_add_co_u32_e32 v12, vcc, v9, v6
	v_addc_co_u32_e32 v13, vcc, 0, v7, vcc
	v_mad_u64_u32 v[6:7], s[0:1], v11, s25, 0
	v_mad_u64_u32 v[8:9], s[0:1], v11, s7, 0
	v_add_co_u32_e32 v6, vcc, v12, v6
	v_addc_co_u32_e32 v6, vcc, v13, v7, vcc
	v_addc_co_u32_e32 v7, vcc, 0, v9, vcc
	v_add_co_u32_e32 v8, vcc, v6, v8
	v_addc_co_u32_e32 v9, vcc, 0, v7, vcc
	v_mul_lo_u32 v12, s21, v8
	v_mul_lo_u32 v13, s20, v9
	v_mad_u64_u32 v[6:7], s[0:1], s20, v8, 0
	v_xor_b32_e32 v4, s6, v4
	v_add3_u32 v7, v7, v13, v12
	v_sub_u32_e32 v12, v11, v7
	v_mov_b32_e32 v13, s21
	v_sub_co_u32_e32 v6, vcc, v10, v6
	v_subb_co_u32_e64 v10, s[0:1], v12, v13, vcc
	v_subrev_co_u32_e64 v12, s[0:1], s20, v6
	v_subbrev_co_u32_e64 v10, s[0:1], 0, v10, s[0:1]
	v_cmp_le_u32_e64 s[0:1], s21, v10
	v_cndmask_b32_e64 v13, 0, -1, s[0:1]
	v_cmp_le_u32_e64 s[0:1], s20, v12
	v_cndmask_b32_e64 v12, 0, -1, s[0:1]
	v_cmp_eq_u32_e64 s[0:1], s21, v10
	v_cndmask_b32_e64 v10, v13, v12, s[0:1]
	v_add_co_u32_e64 v12, s[0:1], 2, v8
	v_subb_co_u32_e32 v7, vcc, v11, v7, vcc
	v_addc_co_u32_e64 v13, s[0:1], 0, v9, s[0:1]
	v_cmp_le_u32_e32 vcc, s21, v7
	v_add_co_u32_e64 v14, s[0:1], 1, v8
	v_cndmask_b32_e64 v11, 0, -1, vcc
	v_cmp_le_u32_e32 vcc, s20, v6
	v_addc_co_u32_e64 v15, s[0:1], 0, v9, s[0:1]
	v_cndmask_b32_e64 v6, 0, -1, vcc
	v_cmp_eq_u32_e32 vcc, s21, v7
	v_cmp_ne_u32_e64 s[0:1], 0, v10
	v_cndmask_b32_e32 v6, v11, v6, vcc
	v_cmp_ne_u32_e32 vcc, 0, v6
	v_cndmask_b32_e64 v7, v14, v12, s[0:1]
	v_cndmask_b32_e64 v10, v15, v13, s[0:1]
	v_cndmask_b32_e32 v7, v8, v7, vcc
	v_cndmask_b32_e32 v6, v9, v10, vcc
	v_xor_b32_e32 v7, v7, v4
	v_xor_b32_e32 v6, v6, v4
	v_sub_co_u32_e32 v8, vcc, v7, v4
	v_subb_co_u32_e32 v9, vcc, v6, v4, vcc
.LBB19_24:
	s_andn2_saveexec_b64 s[0:1], s[2:3]
	s_cbranch_execz .LBB19_26
; %bb.25:
	v_cvt_f32_u32_e32 v4, s23
	s_sub_i32 s2, 0, s23
	v_mov_b32_e32 v9, 0
	v_rcp_iflag_f32_e32 v4, v4
	v_mul_f32_e32 v4, 0x4f7ffffe, v4
	v_cvt_u32_f32_e32 v4, v4
	v_mul_lo_u32 v6, s2, v4
	v_mul_hi_u32 v6, v4, v6
	v_add_u32_e32 v4, v4, v6
	v_mul_hi_u32 v4, v0, v4
	v_mul_lo_u32 v6, v4, s23
	v_add_u32_e32 v7, 1, v4
	v_sub_u32_e32 v6, v0, v6
	v_subrev_u32_e32 v8, s23, v6
	v_cmp_le_u32_e32 vcc, s23, v6
	v_cndmask_b32_e32 v6, v6, v8, vcc
	v_cndmask_b32_e32 v4, v4, v7, vcc
	v_add_u32_e32 v7, 1, v4
	v_cmp_le_u32_e32 vcc, s23, v6
	v_cndmask_b32_e32 v8, v4, v7, vcc
.LBB19_26:
	s_or_b64 exec, exec, s[0:1]
	v_or_b32_e32 v7, s13, v9
	v_mov_b32_e32 v6, 0
	v_cmp_ne_u64_e32 vcc, 0, v[6:7]
                                        ; implicit-def: $vgpr6_vgpr7
	s_and_saveexec_b64 s[0:1], vcc
	s_xor_b64 s[2:3], exec, s[0:1]
	s_cbranch_execz .LBB19_28
; %bb.27:
	v_cvt_f32_u32_e32 v4, s12
	v_cvt_f32_u32_e32 v6, s13
	s_sub_u32 s6, 0, s12
	s_subb_u32 s7, 0, s13
	v_madmk_f32 v4, v6, 0x4f800000, v4
	v_rcp_f32_e32 v4, v4
	v_mul_f32_e32 v4, 0x5f7ffffc, v4
	v_mul_f32_e32 v6, 0x2f800000, v4
	v_trunc_f32_e32 v6, v6
	v_madmk_f32 v4, v6, 0xcf800000, v4
	v_cvt_u32_f32_e32 v6, v6
	v_cvt_u32_f32_e32 v4, v4
	v_readfirstlane_b32 s20, v6
	v_readfirstlane_b32 s0, v4
	s_mul_i32 s1, s6, s20
	s_mul_hi_u32 s25, s6, s0
	s_mul_i32 s21, s7, s0
	s_add_i32 s1, s25, s1
	s_mul_i32 s28, s6, s0
	s_add_i32 s1, s1, s21
	s_mul_i32 s25, s0, s1
	s_mul_hi_u32 s29, s0, s28
	s_mul_hi_u32 s21, s0, s1
	s_add_u32 s25, s29, s25
	s_addc_u32 s21, 0, s21
	s_mul_hi_u32 s30, s20, s28
	s_mul_i32 s28, s20, s28
	s_add_u32 s25, s25, s28
	s_mul_hi_u32 s29, s20, s1
	s_addc_u32 s21, s21, s30
	s_addc_u32 s25, s29, 0
	s_mul_i32 s1, s20, s1
	s_add_u32 s1, s21, s1
	s_addc_u32 s21, 0, s25
	s_add_u32 s25, s0, s1
	s_cselect_b64 s[0:1], -1, 0
	s_cmp_lg_u64 s[0:1], 0
	s_addc_u32 s20, s20, s21
	s_mul_i32 s0, s6, s20
	s_mul_hi_u32 s1, s6, s25
	s_add_i32 s0, s1, s0
	s_mul_i32 s7, s7, s25
	s_add_i32 s0, s0, s7
	s_mul_i32 s6, s6, s25
	s_mul_hi_u32 s7, s20, s6
	s_mul_i32 s21, s20, s6
	s_mul_i32 s29, s25, s0
	s_mul_hi_u32 s6, s25, s6
	s_mul_hi_u32 s28, s25, s0
	s_add_u32 s6, s6, s29
	s_addc_u32 s28, 0, s28
	s_add_u32 s6, s6, s21
	s_mul_hi_u32 s1, s20, s0
	s_addc_u32 s6, s28, s7
	s_addc_u32 s1, s1, 0
	s_mul_i32 s0, s20, s0
	s_add_u32 s0, s6, s0
	s_addc_u32 s6, 0, s1
	s_add_u32 s7, s25, s0
	s_cselect_b64 s[0:1], -1, 0
	s_cmp_lg_u64 s[0:1], 0
	s_addc_u32 s6, s20, s6
	v_mad_u64_u32 v[6:7], s[0:1], v8, s6, 0
	v_mul_hi_u32 v4, v8, s7
	v_mad_u64_u32 v[10:11], s[0:1], v9, s6, 0
	v_add_co_u32_e32 v4, vcc, v4, v6
	v_addc_co_u32_e32 v12, vcc, 0, v7, vcc
	v_mad_u64_u32 v[6:7], s[0:1], v9, s7, 0
	v_add_co_u32_e32 v4, vcc, v4, v6
	v_addc_co_u32_e32 v4, vcc, v12, v7, vcc
	v_addc_co_u32_e32 v6, vcc, 0, v11, vcc
	v_add_co_u32_e32 v4, vcc, v4, v10
	v_addc_co_u32_e32 v6, vcc, 0, v6, vcc
	v_mul_lo_u32 v10, s13, v4
	v_mul_lo_u32 v11, s12, v6
	v_mad_u64_u32 v[6:7], s[0:1], s12, v4, 0
	v_add3_u32 v4, v7, v11, v10
	v_sub_u32_e32 v7, v9, v4
	v_mov_b32_e32 v10, s13
	v_sub_co_u32_e32 v6, vcc, v8, v6
	v_subb_co_u32_e64 v7, s[0:1], v7, v10, vcc
	v_subrev_co_u32_e64 v8, s[0:1], s12, v6
	v_subbrev_co_u32_e64 v7, s[0:1], 0, v7, s[0:1]
	v_cmp_le_u32_e64 s[0:1], s13, v7
	v_subb_co_u32_e32 v4, vcc, v9, v4, vcc
	v_cndmask_b32_e64 v10, 0, -1, s[0:1]
	v_cmp_le_u32_e64 s[0:1], s12, v8
	v_cmp_le_u32_e32 vcc, s13, v4
	v_cndmask_b32_e64 v11, 0, -1, s[0:1]
	v_cmp_eq_u32_e64 s[0:1], s13, v7
	v_cndmask_b32_e64 v9, 0, -1, vcc
	v_cmp_le_u32_e32 vcc, s12, v6
	v_cndmask_b32_e64 v7, v10, v11, s[0:1]
	v_cndmask_b32_e64 v11, 0, -1, vcc
	v_cmp_eq_u32_e32 vcc, s13, v4
	v_subrev_co_u32_e64 v10, s[0:1], s12, v8
	v_cndmask_b32_e32 v4, v9, v11, vcc
	v_cmp_ne_u32_e32 vcc, 0, v7
	v_cndmask_b32_e32 v7, v8, v10, vcc
	v_cmp_ne_u32_e32 vcc, 0, v4
	v_cndmask_b32_e32 v6, v6, v7, vcc
                                        ; implicit-def: $vgpr8_vgpr9
.LBB19_28:
	s_andn2_saveexec_b64 s[0:1], s[2:3]
	s_cbranch_execz .LBB19_30
; %bb.29:
	v_cvt_f32_u32_e32 v4, s12
	s_sub_i32 s2, 0, s12
	v_rcp_iflag_f32_e32 v4, v4
	v_mul_f32_e32 v4, 0x4f7ffffe, v4
	v_cvt_u32_f32_e32 v4, v4
	v_mul_lo_u32 v6, s2, v4
	v_mul_hi_u32 v6, v4, v6
	v_add_u32_e32 v4, v4, v6
	v_mul_hi_u32 v4, v8, v4
	v_mul_lo_u32 v4, v4, s12
	v_sub_u32_e32 v4, v8, v4
	v_subrev_u32_e32 v6, s12, v4
	v_cmp_le_u32_e32 vcc, s12, v4
	v_cndmask_b32_e32 v4, v4, v6, vcc
	v_subrev_u32_e32 v6, s12, v4
	v_cmp_le_u32_e32 vcc, s12, v4
	v_cndmask_b32_e32 v6, v4, v6, vcc
.LBB19_30:
	s_or_b64 exec, exec, s[0:1]
	s_mul_i32 s0, s18, s17
	s_mul_hi_u32 s1, s18, s16
	s_add_i32 s0, s1, s0
	s_mul_i32 s1, s19, s16
	s_add_i32 s30, s0, s1
	s_load_dwordx4 s[0:3], s[4:5], 0x50
	v_cvt_f32_i32_e32 v4, v5
	v_add_u32_e32 v5, 1, v5
	v_cvt_f32_i32_e32 v5, v5
	v_mul_lo_u32 v3, v3, s24
	s_waitcnt lgkmcnt(0)
	v_fma_f32 v4, s1, v4, -0.5
	v_ceil_f32_e32 v4, v4
	v_fma_f32 v5, s1, v5, -0.5
	v_ceil_f32_e32 v5, v5
	v_sub_u32_e32 v3, v0, v3
	v_cvt_i32_f32_e32 v5, v5
	v_cvt_f32_i32_e32 v7, v3
	v_add_u32_e32 v3, 1, v3
	v_cvt_f32_i32_e32 v3, v3
	v_min_i32_e32 v13, s16, v5
	v_fma_f32 v5, s2, v7, -0.5
	v_cvt_f32_i32_e32 v7, v2
	v_add_u32_e32 v2, 1, v2
	v_cvt_f32_i32_e32 v2, v2
	v_fma_f32 v3, s2, v3, -0.5
	v_ceil_f32_e32 v3, v3
	v_fma_f32 v7, s0, v7, -0.5
	v_fma_f32 v2, s0, v2, -0.5
	v_ceil_f32_e32 v2, v2
	v_ceil_f32_e32 v5, v5
	v_cvt_i32_f32_e32 v3, v3
	v_ceil_f32_e32 v7, v7
	v_cvt_i32_f32_e32 v2, v2
	v_cvt_i32_f32_e32 v4, v4
	;; [unrolled: 1-line block ×4, first 2 shown]
	s_mul_i32 s31, s18, s16
	s_mul_i32 s0, s31, s15
	s_mul_hi_u32 s1, s31, s14
	s_mul_i32 s6, s23, s13
	s_mul_hi_u32 s7, s23, s12
	v_min_i32_e32 v15, s18, v3
	v_min_i32_e32 v17, s14, v2
	s_add_i32 s0, s1, s0
	s_mul_i32 s1, s30, s14
	s_add_i32 s6, s7, s6
	s_mul_i32 s7, s22, s12
	v_min_i32_e32 v12, s16, v4
	v_min_i32_e32 v14, s18, v5
	;; [unrolled: 1-line block ×3, first 2 shown]
	s_add_i32 s33, s0, s1
	s_mul_i32 s34, s31, s14
	v_cmp_gt_i32_e64 s[0:1], v17, v7
	v_cmp_gt_i32_e64 s[2:3], v13, v4
	;; [unrolled: 1-line block ×3, first 2 shown]
	v_ashrrev_i32_e32 v7, 31, v6
	s_add_i32 s35, s6, s7
	s_mul_i32 s36, s23, s12
	s_mov_b64 s[14:15], 0
	s_branch .LBB19_33
.LBB19_31:                              ;   in Loop: Header=BB19_33 Depth=1
	s_or_b64 exec, exec, s[16:17]
.LBB19_32:                              ;   in Loop: Header=BB19_33 Depth=1
	s_or_b64 exec, exec, s[6:7]
	v_mov_b32_e32 v4, s27
	v_add_co_u32_e32 v3, vcc, s26, v0
	v_addc_co_u32_e32 v4, vcc, v4, v1, vcc
	s_add_u32 s14, s14, 1
	global_store_byte v[3:4], v2, off
	s_addc_u32 s15, s15, 0
	v_mov_b32_e32 v2, s14
	v_mov_b32_e32 v3, s15
	v_cmp_le_u64_e32 vcc, s[10:11], v[2:3]
	v_mov_b32_e32 v4, s35
	v_add_co_u32_e64 v0, s[6:7], s36, v0
	v_addc_co_u32_e64 v1, s[6:7], v1, v4, s[6:7]
	s_cbranch_vccnz .LBB19_44
.LBB19_33:                              ; =>This Loop Header: Depth=1
                                        ;     Child Loop BB19_37 Depth 2
                                        ;       Child Loop BB19_40 Depth 3
                                        ;         Child Loop BB19_42 Depth 4
	v_mov_b32_e32 v2, 0
	s_and_saveexec_b64 s[6:7], s[0:1]
	s_cbranch_execz .LBB19_32
; %bb.34:                               ;   in Loop: Header=BB19_33 Depth=1
	v_mov_b32_e32 v2, s12
	v_mad_u64_u32 v[2:3], s[16:17], s14, v2, v[6:7]
	s_mul_i32 s16, s15, s12
	s_mul_i32 s17, s14, s13
	s_add_i32 s17, s17, s16
	v_add_u32_e32 v3, s17, v3
	v_mul_lo_u32 v8, s34, v3
	v_mov_b32_e32 v3, s8
	v_mov_b32_e32 v4, s9
	v_mul_lo_u32 v9, s33, v2
	v_mad_u64_u32 v[4:5], s[16:17], s34, v2, v[3:4]
	v_mov_b32_e32 v2, 0
	s_mov_b64 s[16:17], 0
	v_add3_u32 v5, v9, v5, v8
	v_mov_b32_e32 v3, 0
	v_mov_b32_e32 v18, v16
	s_branch .LBB19_37
.LBB19_35:                              ;   in Loop: Header=BB19_37 Depth=2
	s_or_b64 exec, exec, s[22:23]
.LBB19_36:                              ;   in Loop: Header=BB19_37 Depth=2
	s_or_b64 exec, exec, s[20:21]
	v_add_u32_e32 v18, 1, v18
	v_cmp_ge_i32_e32 vcc, v18, v17
	s_or_b64 s[16:17], vcc, s[16:17]
	s_andn2_b64 exec, exec, s[16:17]
	s_cbranch_execz .LBB19_31
.LBB19_37:                              ;   Parent Loop BB19_33 Depth=1
                                        ; =>  This Loop Header: Depth=2
                                        ;       Child Loop BB19_40 Depth 3
                                        ;         Child Loop BB19_42 Depth 4
	s_and_saveexec_b64 s[20:21], s[2:3]
	s_cbranch_execz .LBB19_36
; %bb.38:                               ;   in Loop: Header=BB19_37 Depth=2
	v_ashrrev_i32_e32 v10, 31, v18
	v_mad_u64_u32 v[8:9], s[22:23], s31, v18, v[4:5]
	v_mul_lo_u32 v11, s30, v18
	v_mul_lo_u32 v10, s31, v10
	s_mov_b64 s[22:23], 0
	v_mov_b32_e32 v19, v12
	v_add3_u32 v9, v11, v9, v10
	s_branch .LBB19_40
.LBB19_39:                              ;   in Loop: Header=BB19_40 Depth=3
	s_or_b64 exec, exec, s[24:25]
	v_add_u32_e32 v19, 1, v19
	v_cmp_ge_i32_e32 vcc, v19, v13
	s_or_b64 s[22:23], vcc, s[22:23]
	s_andn2_b64 exec, exec, s[22:23]
	s_cbranch_execz .LBB19_35
.LBB19_40:                              ;   Parent Loop BB19_33 Depth=1
                                        ;     Parent Loop BB19_37 Depth=2
                                        ; =>    This Loop Header: Depth=3
                                        ;         Child Loop BB19_42 Depth 4
	s_and_saveexec_b64 s[24:25], s[4:5]
	s_cbranch_execz .LBB19_39
; %bb.41:                               ;   in Loop: Header=BB19_40 Depth=3
	v_ashrrev_i32_e32 v20, 31, v19
	v_mad_u64_u32 v[10:11], s[28:29], s18, v19, v[8:9]
	v_mul_lo_u32 v21, s19, v19
	v_mul_lo_u32 v20, s18, v20
	s_mov_b64 s[28:29], 0
	v_add3_u32 v11, v21, v11, v20
	v_mov_b32_e32 v20, v14
.LBB19_42:                              ;   Parent Loop BB19_33 Depth=1
                                        ;     Parent Loop BB19_37 Depth=2
                                        ;       Parent Loop BB19_40 Depth=3
                                        ; =>      This Inner Loop Header: Depth=4
	v_ashrrev_i32_e32 v22, 31, v20
	v_add_co_u32_e32 v21, vcc, v10, v20
	v_addc_co_u32_e32 v22, vcc, v11, v22, vcc
	global_load_ubyte v21, v[21:22], off
	v_add_u32_e32 v20, 1, v20
	v_cmp_ge_i32_e32 vcc, v20, v15
	s_or_b64 s[28:29], vcc, s[28:29]
	s_waitcnt vmcnt(0)
	v_and_b32_e32 v21, 0xffff, v21
	v_add_co_u32_e32 v2, vcc, v2, v21
	v_addc_co_u32_e32 v3, vcc, 0, v3, vcc
	s_andn2_b64 exec, exec, s[28:29]
	s_cbranch_execnz .LBB19_42
; %bb.43:                               ;   in Loop: Header=BB19_40 Depth=3
	s_or_b64 exec, exec, s[28:29]
	s_branch .LBB19_39
.LBB19_44:
	s_endpgm
	.section	.rodata,"a",@progbits
	.p2align	6, 0x0
	.amdhsa_kernel _ZN2at6native12_GLOBAL__N_137upsample_nearest3d_backward_out_frameIhlXadL_ZNS0_46nearest_neighbor_exact_bw_compute_source_indexEfiiEEEEvPKT_mmmmmmmmPS3_fff
		.amdhsa_group_segment_fixed_size 0
		.amdhsa_private_segment_fixed_size 0
		.amdhsa_kernarg_size 352
		.amdhsa_user_sgpr_count 6
		.amdhsa_user_sgpr_private_segment_buffer 1
		.amdhsa_user_sgpr_dispatch_ptr 0
		.amdhsa_user_sgpr_queue_ptr 0
		.amdhsa_user_sgpr_kernarg_segment_ptr 1
		.amdhsa_user_sgpr_dispatch_id 0
		.amdhsa_user_sgpr_flat_scratch_init 0
		.amdhsa_user_sgpr_private_segment_size 0
		.amdhsa_uses_dynamic_stack 0
		.amdhsa_system_sgpr_private_segment_wavefront_offset 0
		.amdhsa_system_sgpr_workgroup_id_x 1
		.amdhsa_system_sgpr_workgroup_id_y 0
		.amdhsa_system_sgpr_workgroup_id_z 0
		.amdhsa_system_sgpr_workgroup_info 0
		.amdhsa_system_vgpr_workitem_id 0
		.amdhsa_next_free_vgpr 23
		.amdhsa_next_free_sgpr 37
		.amdhsa_reserve_vcc 1
		.amdhsa_reserve_flat_scratch 0
		.amdhsa_float_round_mode_32 0
		.amdhsa_float_round_mode_16_64 0
		.amdhsa_float_denorm_mode_32 3
		.amdhsa_float_denorm_mode_16_64 3
		.amdhsa_dx10_clamp 1
		.amdhsa_ieee_mode 1
		.amdhsa_fp16_overflow 0
		.amdhsa_exception_fp_ieee_invalid_op 0
		.amdhsa_exception_fp_denorm_src 0
		.amdhsa_exception_fp_ieee_div_zero 0
		.amdhsa_exception_fp_ieee_overflow 0
		.amdhsa_exception_fp_ieee_underflow 0
		.amdhsa_exception_fp_ieee_inexact 0
		.amdhsa_exception_int_div_zero 0
	.end_amdhsa_kernel
	.section	.text._ZN2at6native12_GLOBAL__N_137upsample_nearest3d_backward_out_frameIhlXadL_ZNS0_46nearest_neighbor_exact_bw_compute_source_indexEfiiEEEEvPKT_mmmmmmmmPS3_fff,"axG",@progbits,_ZN2at6native12_GLOBAL__N_137upsample_nearest3d_backward_out_frameIhlXadL_ZNS0_46nearest_neighbor_exact_bw_compute_source_indexEfiiEEEEvPKT_mmmmmmmmPS3_fff,comdat
.Lfunc_end19:
	.size	_ZN2at6native12_GLOBAL__N_137upsample_nearest3d_backward_out_frameIhlXadL_ZNS0_46nearest_neighbor_exact_bw_compute_source_indexEfiiEEEEvPKT_mmmmmmmmPS3_fff, .Lfunc_end19-_ZN2at6native12_GLOBAL__N_137upsample_nearest3d_backward_out_frameIhlXadL_ZNS0_46nearest_neighbor_exact_bw_compute_source_indexEfiiEEEEvPKT_mmmmmmmmPS3_fff
                                        ; -- End function
	.set _ZN2at6native12_GLOBAL__N_137upsample_nearest3d_backward_out_frameIhlXadL_ZNS0_46nearest_neighbor_exact_bw_compute_source_indexEfiiEEEEvPKT_mmmmmmmmPS3_fff.num_vgpr, 23
	.set _ZN2at6native12_GLOBAL__N_137upsample_nearest3d_backward_out_frameIhlXadL_ZNS0_46nearest_neighbor_exact_bw_compute_source_indexEfiiEEEEvPKT_mmmmmmmmPS3_fff.num_agpr, 0
	.set _ZN2at6native12_GLOBAL__N_137upsample_nearest3d_backward_out_frameIhlXadL_ZNS0_46nearest_neighbor_exact_bw_compute_source_indexEfiiEEEEvPKT_mmmmmmmmPS3_fff.numbered_sgpr, 37
	.set _ZN2at6native12_GLOBAL__N_137upsample_nearest3d_backward_out_frameIhlXadL_ZNS0_46nearest_neighbor_exact_bw_compute_source_indexEfiiEEEEvPKT_mmmmmmmmPS3_fff.num_named_barrier, 0
	.set _ZN2at6native12_GLOBAL__N_137upsample_nearest3d_backward_out_frameIhlXadL_ZNS0_46nearest_neighbor_exact_bw_compute_source_indexEfiiEEEEvPKT_mmmmmmmmPS3_fff.private_seg_size, 0
	.set _ZN2at6native12_GLOBAL__N_137upsample_nearest3d_backward_out_frameIhlXadL_ZNS0_46nearest_neighbor_exact_bw_compute_source_indexEfiiEEEEvPKT_mmmmmmmmPS3_fff.uses_vcc, 1
	.set _ZN2at6native12_GLOBAL__N_137upsample_nearest3d_backward_out_frameIhlXadL_ZNS0_46nearest_neighbor_exact_bw_compute_source_indexEfiiEEEEvPKT_mmmmmmmmPS3_fff.uses_flat_scratch, 0
	.set _ZN2at6native12_GLOBAL__N_137upsample_nearest3d_backward_out_frameIhlXadL_ZNS0_46nearest_neighbor_exact_bw_compute_source_indexEfiiEEEEvPKT_mmmmmmmmPS3_fff.has_dyn_sized_stack, 0
	.set _ZN2at6native12_GLOBAL__N_137upsample_nearest3d_backward_out_frameIhlXadL_ZNS0_46nearest_neighbor_exact_bw_compute_source_indexEfiiEEEEvPKT_mmmmmmmmPS3_fff.has_recursion, 0
	.set _ZN2at6native12_GLOBAL__N_137upsample_nearest3d_backward_out_frameIhlXadL_ZNS0_46nearest_neighbor_exact_bw_compute_source_indexEfiiEEEEvPKT_mmmmmmmmPS3_fff.has_indirect_call, 0
	.section	.AMDGPU.csdata,"",@progbits
; Kernel info:
; codeLenInByte = 5592
; TotalNumSgprs: 41
; NumVgprs: 23
; ScratchSize: 0
; MemoryBound: 0
; FloatMode: 240
; IeeeMode: 1
; LDSByteSize: 0 bytes/workgroup (compile time only)
; SGPRBlocks: 5
; VGPRBlocks: 5
; NumSGPRsForWavesPerEU: 41
; NumVGPRsForWavesPerEU: 23
; Occupancy: 10
; WaveLimiterHint : 0
; COMPUTE_PGM_RSRC2:SCRATCH_EN: 0
; COMPUTE_PGM_RSRC2:USER_SGPR: 6
; COMPUTE_PGM_RSRC2:TRAP_HANDLER: 0
; COMPUTE_PGM_RSRC2:TGID_X_EN: 1
; COMPUTE_PGM_RSRC2:TGID_Y_EN: 0
; COMPUTE_PGM_RSRC2:TGID_Z_EN: 0
; COMPUTE_PGM_RSRC2:TIDIG_COMP_CNT: 0
	.section	.AMDGPU.gpr_maximums,"",@progbits
	.set amdgpu.max_num_vgpr, 0
	.set amdgpu.max_num_agpr, 0
	.set amdgpu.max_num_sgpr, 0
	.section	.AMDGPU.csdata,"",@progbits
	.type	__hip_cuid_cd716fbfc92d6f14,@object ; @__hip_cuid_cd716fbfc92d6f14
	.section	.bss,"aw",@nobits
	.globl	__hip_cuid_cd716fbfc92d6f14
__hip_cuid_cd716fbfc92d6f14:
	.byte	0                               ; 0x0
	.size	__hip_cuid_cd716fbfc92d6f14, 1

	.ident	"AMD clang version 22.0.0git (https://github.com/RadeonOpenCompute/llvm-project roc-7.2.4 26084 f58b06dce1f9c15707c5f808fd002e18c2accf7e)"
	.section	".note.GNU-stack","",@progbits
	.addrsig
	.addrsig_sym __hip_cuid_cd716fbfc92d6f14
	.amdgpu_metadata
---
amdhsa.kernels:
  - .args:
      - .address_space:  global
        .offset:         0
        .size:           8
        .value_kind:     global_buffer
      - .offset:         8
        .size:           8
        .value_kind:     by_value
      - .offset:         16
        .size:           8
        .value_kind:     by_value
      - .offset:         24
        .size:           8
        .value_kind:     by_value
      - .offset:         32
        .size:           8
        .value_kind:     by_value
      - .offset:         40
        .size:           8
        .value_kind:     by_value
      - .offset:         48
        .size:           8
        .value_kind:     by_value
      - .offset:         56
        .size:           8
        .value_kind:     by_value
      - .offset:         64
        .size:           8
        .value_kind:     by_value
      - .address_space:  global
        .offset:         72
        .size:           8
        .value_kind:     global_buffer
      - .offset:         80
        .size:           4
        .value_kind:     by_value
      - .offset:         84
        .size:           4
        .value_kind:     by_value
      - .offset:         88
        .size:           4
        .value_kind:     by_value
      - .offset:         96
        .size:           4
        .value_kind:     hidden_block_count_x
      - .offset:         100
        .size:           4
        .value_kind:     hidden_block_count_y
      - .offset:         104
        .size:           4
        .value_kind:     hidden_block_count_z
      - .offset:         108
        .size:           2
        .value_kind:     hidden_group_size_x
      - .offset:         110
        .size:           2
        .value_kind:     hidden_group_size_y
      - .offset:         112
        .size:           2
        .value_kind:     hidden_group_size_z
      - .offset:         114
        .size:           2
        .value_kind:     hidden_remainder_x
      - .offset:         116
        .size:           2
        .value_kind:     hidden_remainder_y
      - .offset:         118
        .size:           2
        .value_kind:     hidden_remainder_z
      - .offset:         136
        .size:           8
        .value_kind:     hidden_global_offset_x
      - .offset:         144
        .size:           8
        .value_kind:     hidden_global_offset_y
      - .offset:         152
        .size:           8
        .value_kind:     hidden_global_offset_z
      - .offset:         160
        .size:           2
        .value_kind:     hidden_grid_dims
    .group_segment_fixed_size: 0
    .kernarg_segment_align: 8
    .kernarg_segment_size: 352
    .language:       OpenCL C
    .language_version:
      - 2
      - 0
    .max_flat_workgroup_size: 1024
    .name:           _ZN2at6native12_GLOBAL__N_128upsample_nearest3d_out_frameIdXadL_ZNS0_37nearest_neighbor_compute_source_indexEfiiEEEEvPKT_mmmmmmmmPS3_fff
    .private_segment_fixed_size: 0
    .sgpr_count:     43
    .sgpr_spill_count: 0
    .symbol:         _ZN2at6native12_GLOBAL__N_128upsample_nearest3d_out_frameIdXadL_ZNS0_37nearest_neighbor_compute_source_indexEfiiEEEEvPKT_mmmmmmmmPS3_fff.kd
    .uniform_work_group_size: 1
    .uses_dynamic_stack: false
    .vgpr_count:     19
    .vgpr_spill_count: 0
    .wavefront_size: 64
  - .args:
      - .address_space:  global
        .offset:         0
        .size:           8
        .value_kind:     global_buffer
      - .offset:         8
        .size:           8
        .value_kind:     by_value
      - .offset:         16
        .size:           8
        .value_kind:     by_value
      - .offset:         24
        .size:           8
        .value_kind:     by_value
      - .offset:         32
        .size:           8
        .value_kind:     by_value
      - .offset:         40
        .size:           8
        .value_kind:     by_value
      - .offset:         48
        .size:           8
        .value_kind:     by_value
      - .offset:         56
        .size:           8
        .value_kind:     by_value
      - .offset:         64
        .size:           8
        .value_kind:     by_value
      - .address_space:  global
        .offset:         72
        .size:           8
        .value_kind:     global_buffer
      - .offset:         80
        .size:           4
        .value_kind:     by_value
      - .offset:         84
        .size:           4
        .value_kind:     by_value
      - .offset:         88
        .size:           4
        .value_kind:     by_value
      - .offset:         96
        .size:           4
        .value_kind:     hidden_block_count_x
      - .offset:         100
        .size:           4
        .value_kind:     hidden_block_count_y
      - .offset:         104
        .size:           4
        .value_kind:     hidden_block_count_z
      - .offset:         108
        .size:           2
        .value_kind:     hidden_group_size_x
      - .offset:         110
        .size:           2
        .value_kind:     hidden_group_size_y
      - .offset:         112
        .size:           2
        .value_kind:     hidden_group_size_z
      - .offset:         114
        .size:           2
        .value_kind:     hidden_remainder_x
      - .offset:         116
        .size:           2
        .value_kind:     hidden_remainder_y
      - .offset:         118
        .size:           2
        .value_kind:     hidden_remainder_z
      - .offset:         136
        .size:           8
        .value_kind:     hidden_global_offset_x
      - .offset:         144
        .size:           8
        .value_kind:     hidden_global_offset_y
      - .offset:         152
        .size:           8
        .value_kind:     hidden_global_offset_z
      - .offset:         160
        .size:           2
        .value_kind:     hidden_grid_dims
    .group_segment_fixed_size: 0
    .kernarg_segment_align: 8
    .kernarg_segment_size: 352
    .language:       OpenCL C
    .language_version:
      - 2
      - 0
    .max_flat_workgroup_size: 1024
    .name:           _ZN2at6native12_GLOBAL__N_128upsample_nearest3d_out_frameIfXadL_ZNS0_37nearest_neighbor_compute_source_indexEfiiEEEEvPKT_mmmmmmmmPS3_fff
    .private_segment_fixed_size: 0
    .sgpr_count:     43
    .sgpr_spill_count: 0
    .symbol:         _ZN2at6native12_GLOBAL__N_128upsample_nearest3d_out_frameIfXadL_ZNS0_37nearest_neighbor_compute_source_indexEfiiEEEEvPKT_mmmmmmmmPS3_fff.kd
    .uniform_work_group_size: 1
    .uses_dynamic_stack: false
    .vgpr_count:     19
    .vgpr_spill_count: 0
    .wavefront_size: 64
  - .args:
      - .address_space:  global
        .offset:         0
        .size:           8
        .value_kind:     global_buffer
      - .offset:         8
        .size:           8
        .value_kind:     by_value
      - .offset:         16
        .size:           8
        .value_kind:     by_value
      - .offset:         24
        .size:           8
        .value_kind:     by_value
      - .offset:         32
        .size:           8
        .value_kind:     by_value
      - .offset:         40
        .size:           8
        .value_kind:     by_value
      - .offset:         48
        .size:           8
        .value_kind:     by_value
      - .offset:         56
        .size:           8
        .value_kind:     by_value
      - .offset:         64
        .size:           8
        .value_kind:     by_value
      - .address_space:  global
        .offset:         72
        .size:           8
        .value_kind:     global_buffer
      - .offset:         80
        .size:           4
        .value_kind:     by_value
      - .offset:         84
        .size:           4
        .value_kind:     by_value
      - .offset:         88
        .size:           4
        .value_kind:     by_value
      - .offset:         96
        .size:           4
        .value_kind:     hidden_block_count_x
      - .offset:         100
        .size:           4
        .value_kind:     hidden_block_count_y
      - .offset:         104
        .size:           4
        .value_kind:     hidden_block_count_z
      - .offset:         108
        .size:           2
        .value_kind:     hidden_group_size_x
      - .offset:         110
        .size:           2
        .value_kind:     hidden_group_size_y
      - .offset:         112
        .size:           2
        .value_kind:     hidden_group_size_z
      - .offset:         114
        .size:           2
        .value_kind:     hidden_remainder_x
      - .offset:         116
        .size:           2
        .value_kind:     hidden_remainder_y
      - .offset:         118
        .size:           2
        .value_kind:     hidden_remainder_z
      - .offset:         136
        .size:           8
        .value_kind:     hidden_global_offset_x
      - .offset:         144
        .size:           8
        .value_kind:     hidden_global_offset_y
      - .offset:         152
        .size:           8
        .value_kind:     hidden_global_offset_z
      - .offset:         160
        .size:           2
        .value_kind:     hidden_grid_dims
    .group_segment_fixed_size: 0
    .kernarg_segment_align: 8
    .kernarg_segment_size: 352
    .language:       OpenCL C
    .language_version:
      - 2
      - 0
    .max_flat_workgroup_size: 1024
    .name:           _ZN2at6native12_GLOBAL__N_128upsample_nearest3d_out_frameIN3c104HalfEXadL_ZNS0_37nearest_neighbor_compute_source_indexEfiiEEEEvPKT_mmmmmmmmPS5_fff
    .private_segment_fixed_size: 0
    .sgpr_count:     43
    .sgpr_spill_count: 0
    .symbol:         _ZN2at6native12_GLOBAL__N_128upsample_nearest3d_out_frameIN3c104HalfEXadL_ZNS0_37nearest_neighbor_compute_source_indexEfiiEEEEvPKT_mmmmmmmmPS5_fff.kd
    .uniform_work_group_size: 1
    .uses_dynamic_stack: false
    .vgpr_count:     19
    .vgpr_spill_count: 0
    .wavefront_size: 64
  - .args:
      - .address_space:  global
        .offset:         0
        .size:           8
        .value_kind:     global_buffer
      - .offset:         8
        .size:           8
        .value_kind:     by_value
      - .offset:         16
        .size:           8
        .value_kind:     by_value
      - .offset:         24
        .size:           8
        .value_kind:     by_value
      - .offset:         32
        .size:           8
        .value_kind:     by_value
      - .offset:         40
        .size:           8
        .value_kind:     by_value
      - .offset:         48
        .size:           8
        .value_kind:     by_value
      - .offset:         56
        .size:           8
        .value_kind:     by_value
      - .offset:         64
        .size:           8
        .value_kind:     by_value
      - .address_space:  global
        .offset:         72
        .size:           8
        .value_kind:     global_buffer
      - .offset:         80
        .size:           4
        .value_kind:     by_value
      - .offset:         84
        .size:           4
        .value_kind:     by_value
      - .offset:         88
        .size:           4
        .value_kind:     by_value
      - .offset:         96
        .size:           4
        .value_kind:     hidden_block_count_x
      - .offset:         100
        .size:           4
        .value_kind:     hidden_block_count_y
      - .offset:         104
        .size:           4
        .value_kind:     hidden_block_count_z
      - .offset:         108
        .size:           2
        .value_kind:     hidden_group_size_x
      - .offset:         110
        .size:           2
        .value_kind:     hidden_group_size_y
      - .offset:         112
        .size:           2
        .value_kind:     hidden_group_size_z
      - .offset:         114
        .size:           2
        .value_kind:     hidden_remainder_x
      - .offset:         116
        .size:           2
        .value_kind:     hidden_remainder_y
      - .offset:         118
        .size:           2
        .value_kind:     hidden_remainder_z
      - .offset:         136
        .size:           8
        .value_kind:     hidden_global_offset_x
      - .offset:         144
        .size:           8
        .value_kind:     hidden_global_offset_y
      - .offset:         152
        .size:           8
        .value_kind:     hidden_global_offset_z
      - .offset:         160
        .size:           2
        .value_kind:     hidden_grid_dims
    .group_segment_fixed_size: 0
    .kernarg_segment_align: 8
    .kernarg_segment_size: 352
    .language:       OpenCL C
    .language_version:
      - 2
      - 0
    .max_flat_workgroup_size: 1024
    .name:           _ZN2at6native12_GLOBAL__N_128upsample_nearest3d_out_frameIN3c108BFloat16EXadL_ZNS0_37nearest_neighbor_compute_source_indexEfiiEEEEvPKT_mmmmmmmmPS5_fff
    .private_segment_fixed_size: 0
    .sgpr_count:     43
    .sgpr_spill_count: 0
    .symbol:         _ZN2at6native12_GLOBAL__N_128upsample_nearest3d_out_frameIN3c108BFloat16EXadL_ZNS0_37nearest_neighbor_compute_source_indexEfiiEEEEvPKT_mmmmmmmmPS5_fff.kd
    .uniform_work_group_size: 1
    .uses_dynamic_stack: false
    .vgpr_count:     19
    .vgpr_spill_count: 0
    .wavefront_size: 64
  - .args:
      - .address_space:  global
        .offset:         0
        .size:           8
        .value_kind:     global_buffer
      - .offset:         8
        .size:           8
        .value_kind:     by_value
      - .offset:         16
        .size:           8
        .value_kind:     by_value
      - .offset:         24
        .size:           8
        .value_kind:     by_value
      - .offset:         32
        .size:           8
        .value_kind:     by_value
      - .offset:         40
        .size:           8
        .value_kind:     by_value
      - .offset:         48
        .size:           8
        .value_kind:     by_value
      - .offset:         56
        .size:           8
        .value_kind:     by_value
      - .offset:         64
        .size:           8
        .value_kind:     by_value
      - .address_space:  global
        .offset:         72
        .size:           8
        .value_kind:     global_buffer
      - .offset:         80
        .size:           4
        .value_kind:     by_value
      - .offset:         84
        .size:           4
        .value_kind:     by_value
      - .offset:         88
        .size:           4
        .value_kind:     by_value
      - .offset:         96
        .size:           4
        .value_kind:     hidden_block_count_x
      - .offset:         100
        .size:           4
        .value_kind:     hidden_block_count_y
      - .offset:         104
        .size:           4
        .value_kind:     hidden_block_count_z
      - .offset:         108
        .size:           2
        .value_kind:     hidden_group_size_x
      - .offset:         110
        .size:           2
        .value_kind:     hidden_group_size_y
      - .offset:         112
        .size:           2
        .value_kind:     hidden_group_size_z
      - .offset:         114
        .size:           2
        .value_kind:     hidden_remainder_x
      - .offset:         116
        .size:           2
        .value_kind:     hidden_remainder_y
      - .offset:         118
        .size:           2
        .value_kind:     hidden_remainder_z
      - .offset:         136
        .size:           8
        .value_kind:     hidden_global_offset_x
      - .offset:         144
        .size:           8
        .value_kind:     hidden_global_offset_y
      - .offset:         152
        .size:           8
        .value_kind:     hidden_global_offset_z
      - .offset:         160
        .size:           2
        .value_kind:     hidden_grid_dims
    .group_segment_fixed_size: 0
    .kernarg_segment_align: 8
    .kernarg_segment_size: 352
    .language:       OpenCL C
    .language_version:
      - 2
      - 0
    .max_flat_workgroup_size: 1024
    .name:           _ZN2at6native12_GLOBAL__N_128upsample_nearest3d_out_frameIhXadL_ZNS0_37nearest_neighbor_compute_source_indexEfiiEEEEvPKT_mmmmmmmmPS3_fff
    .private_segment_fixed_size: 0
    .sgpr_count:     45
    .sgpr_spill_count: 0
    .symbol:         _ZN2at6native12_GLOBAL__N_128upsample_nearest3d_out_frameIhXadL_ZNS0_37nearest_neighbor_compute_source_indexEfiiEEEEvPKT_mmmmmmmmPS3_fff.kd
    .uniform_work_group_size: 1
    .uses_dynamic_stack: false
    .vgpr_count:     19
    .vgpr_spill_count: 0
    .wavefront_size: 64
  - .args:
      - .address_space:  global
        .offset:         0
        .size:           8
        .value_kind:     global_buffer
      - .offset:         8
        .size:           8
        .value_kind:     by_value
      - .offset:         16
        .size:           8
        .value_kind:     by_value
      - .offset:         24
        .size:           8
        .value_kind:     by_value
      - .offset:         32
        .size:           8
        .value_kind:     by_value
      - .offset:         40
        .size:           8
        .value_kind:     by_value
      - .offset:         48
        .size:           8
        .value_kind:     by_value
      - .offset:         56
        .size:           8
        .value_kind:     by_value
      - .offset:         64
        .size:           8
        .value_kind:     by_value
      - .address_space:  global
        .offset:         72
        .size:           8
        .value_kind:     global_buffer
      - .offset:         80
        .size:           4
        .value_kind:     by_value
      - .offset:         84
        .size:           4
        .value_kind:     by_value
      - .offset:         88
        .size:           4
        .value_kind:     by_value
      - .offset:         96
        .size:           4
        .value_kind:     hidden_block_count_x
      - .offset:         100
        .size:           4
        .value_kind:     hidden_block_count_y
      - .offset:         104
        .size:           4
        .value_kind:     hidden_block_count_z
      - .offset:         108
        .size:           2
        .value_kind:     hidden_group_size_x
      - .offset:         110
        .size:           2
        .value_kind:     hidden_group_size_y
      - .offset:         112
        .size:           2
        .value_kind:     hidden_group_size_z
      - .offset:         114
        .size:           2
        .value_kind:     hidden_remainder_x
      - .offset:         116
        .size:           2
        .value_kind:     hidden_remainder_y
      - .offset:         118
        .size:           2
        .value_kind:     hidden_remainder_z
      - .offset:         136
        .size:           8
        .value_kind:     hidden_global_offset_x
      - .offset:         144
        .size:           8
        .value_kind:     hidden_global_offset_y
      - .offset:         152
        .size:           8
        .value_kind:     hidden_global_offset_z
      - .offset:         160
        .size:           2
        .value_kind:     hidden_grid_dims
    .group_segment_fixed_size: 0
    .kernarg_segment_align: 8
    .kernarg_segment_size: 352
    .language:       OpenCL C
    .language_version:
      - 2
      - 0
    .max_flat_workgroup_size: 1024
    .name:           _ZN2at6native12_GLOBAL__N_128upsample_nearest3d_out_frameIdXadL_ZNS0_43nearest_neighbor_exact_compute_source_indexEfiiEEEEvPKT_mmmmmmmmPS3_fff
    .private_segment_fixed_size: 0
    .sgpr_count:     43
    .sgpr_spill_count: 0
    .symbol:         _ZN2at6native12_GLOBAL__N_128upsample_nearest3d_out_frameIdXadL_ZNS0_43nearest_neighbor_exact_compute_source_indexEfiiEEEEvPKT_mmmmmmmmPS3_fff.kd
    .uniform_work_group_size: 1
    .uses_dynamic_stack: false
    .vgpr_count:     19
    .vgpr_spill_count: 0
    .wavefront_size: 64
  - .args:
      - .address_space:  global
        .offset:         0
        .size:           8
        .value_kind:     global_buffer
      - .offset:         8
        .size:           8
        .value_kind:     by_value
      - .offset:         16
        .size:           8
        .value_kind:     by_value
      - .offset:         24
        .size:           8
        .value_kind:     by_value
      - .offset:         32
        .size:           8
        .value_kind:     by_value
      - .offset:         40
        .size:           8
        .value_kind:     by_value
      - .offset:         48
        .size:           8
        .value_kind:     by_value
      - .offset:         56
        .size:           8
        .value_kind:     by_value
      - .offset:         64
        .size:           8
        .value_kind:     by_value
      - .address_space:  global
        .offset:         72
        .size:           8
        .value_kind:     global_buffer
      - .offset:         80
        .size:           4
        .value_kind:     by_value
      - .offset:         84
        .size:           4
        .value_kind:     by_value
      - .offset:         88
        .size:           4
        .value_kind:     by_value
      - .offset:         96
        .size:           4
        .value_kind:     hidden_block_count_x
      - .offset:         100
        .size:           4
        .value_kind:     hidden_block_count_y
      - .offset:         104
        .size:           4
        .value_kind:     hidden_block_count_z
      - .offset:         108
        .size:           2
        .value_kind:     hidden_group_size_x
      - .offset:         110
        .size:           2
        .value_kind:     hidden_group_size_y
      - .offset:         112
        .size:           2
        .value_kind:     hidden_group_size_z
      - .offset:         114
        .size:           2
        .value_kind:     hidden_remainder_x
      - .offset:         116
        .size:           2
        .value_kind:     hidden_remainder_y
      - .offset:         118
        .size:           2
        .value_kind:     hidden_remainder_z
      - .offset:         136
        .size:           8
        .value_kind:     hidden_global_offset_x
      - .offset:         144
        .size:           8
        .value_kind:     hidden_global_offset_y
      - .offset:         152
        .size:           8
        .value_kind:     hidden_global_offset_z
      - .offset:         160
        .size:           2
        .value_kind:     hidden_grid_dims
    .group_segment_fixed_size: 0
    .kernarg_segment_align: 8
    .kernarg_segment_size: 352
    .language:       OpenCL C
    .language_version:
      - 2
      - 0
    .max_flat_workgroup_size: 1024
    .name:           _ZN2at6native12_GLOBAL__N_128upsample_nearest3d_out_frameIfXadL_ZNS0_43nearest_neighbor_exact_compute_source_indexEfiiEEEEvPKT_mmmmmmmmPS3_fff
    .private_segment_fixed_size: 0
    .sgpr_count:     43
    .sgpr_spill_count: 0
    .symbol:         _ZN2at6native12_GLOBAL__N_128upsample_nearest3d_out_frameIfXadL_ZNS0_43nearest_neighbor_exact_compute_source_indexEfiiEEEEvPKT_mmmmmmmmPS3_fff.kd
    .uniform_work_group_size: 1
    .uses_dynamic_stack: false
    .vgpr_count:     19
    .vgpr_spill_count: 0
    .wavefront_size: 64
  - .args:
      - .address_space:  global
        .offset:         0
        .size:           8
        .value_kind:     global_buffer
      - .offset:         8
        .size:           8
        .value_kind:     by_value
      - .offset:         16
        .size:           8
        .value_kind:     by_value
      - .offset:         24
        .size:           8
        .value_kind:     by_value
      - .offset:         32
        .size:           8
        .value_kind:     by_value
      - .offset:         40
        .size:           8
        .value_kind:     by_value
      - .offset:         48
        .size:           8
        .value_kind:     by_value
      - .offset:         56
        .size:           8
        .value_kind:     by_value
      - .offset:         64
        .size:           8
        .value_kind:     by_value
      - .address_space:  global
        .offset:         72
        .size:           8
        .value_kind:     global_buffer
      - .offset:         80
        .size:           4
        .value_kind:     by_value
      - .offset:         84
        .size:           4
        .value_kind:     by_value
      - .offset:         88
        .size:           4
        .value_kind:     by_value
      - .offset:         96
        .size:           4
        .value_kind:     hidden_block_count_x
      - .offset:         100
        .size:           4
        .value_kind:     hidden_block_count_y
      - .offset:         104
        .size:           4
        .value_kind:     hidden_block_count_z
      - .offset:         108
        .size:           2
        .value_kind:     hidden_group_size_x
      - .offset:         110
        .size:           2
        .value_kind:     hidden_group_size_y
      - .offset:         112
        .size:           2
        .value_kind:     hidden_group_size_z
      - .offset:         114
        .size:           2
        .value_kind:     hidden_remainder_x
      - .offset:         116
        .size:           2
        .value_kind:     hidden_remainder_y
      - .offset:         118
        .size:           2
        .value_kind:     hidden_remainder_z
      - .offset:         136
        .size:           8
        .value_kind:     hidden_global_offset_x
      - .offset:         144
        .size:           8
        .value_kind:     hidden_global_offset_y
      - .offset:         152
        .size:           8
        .value_kind:     hidden_global_offset_z
      - .offset:         160
        .size:           2
        .value_kind:     hidden_grid_dims
    .group_segment_fixed_size: 0
    .kernarg_segment_align: 8
    .kernarg_segment_size: 352
    .language:       OpenCL C
    .language_version:
      - 2
      - 0
    .max_flat_workgroup_size: 1024
    .name:           _ZN2at6native12_GLOBAL__N_128upsample_nearest3d_out_frameIN3c104HalfEXadL_ZNS0_43nearest_neighbor_exact_compute_source_indexEfiiEEEEvPKT_mmmmmmmmPS5_fff
    .private_segment_fixed_size: 0
    .sgpr_count:     43
    .sgpr_spill_count: 0
    .symbol:         _ZN2at6native12_GLOBAL__N_128upsample_nearest3d_out_frameIN3c104HalfEXadL_ZNS0_43nearest_neighbor_exact_compute_source_indexEfiiEEEEvPKT_mmmmmmmmPS5_fff.kd
    .uniform_work_group_size: 1
    .uses_dynamic_stack: false
    .vgpr_count:     19
    .vgpr_spill_count: 0
    .wavefront_size: 64
  - .args:
      - .address_space:  global
        .offset:         0
        .size:           8
        .value_kind:     global_buffer
      - .offset:         8
        .size:           8
        .value_kind:     by_value
      - .offset:         16
        .size:           8
        .value_kind:     by_value
      - .offset:         24
        .size:           8
        .value_kind:     by_value
      - .offset:         32
        .size:           8
        .value_kind:     by_value
      - .offset:         40
        .size:           8
        .value_kind:     by_value
      - .offset:         48
        .size:           8
        .value_kind:     by_value
      - .offset:         56
        .size:           8
        .value_kind:     by_value
      - .offset:         64
        .size:           8
        .value_kind:     by_value
      - .address_space:  global
        .offset:         72
        .size:           8
        .value_kind:     global_buffer
      - .offset:         80
        .size:           4
        .value_kind:     by_value
      - .offset:         84
        .size:           4
        .value_kind:     by_value
      - .offset:         88
        .size:           4
        .value_kind:     by_value
      - .offset:         96
        .size:           4
        .value_kind:     hidden_block_count_x
      - .offset:         100
        .size:           4
        .value_kind:     hidden_block_count_y
      - .offset:         104
        .size:           4
        .value_kind:     hidden_block_count_z
      - .offset:         108
        .size:           2
        .value_kind:     hidden_group_size_x
      - .offset:         110
        .size:           2
        .value_kind:     hidden_group_size_y
      - .offset:         112
        .size:           2
        .value_kind:     hidden_group_size_z
      - .offset:         114
        .size:           2
        .value_kind:     hidden_remainder_x
      - .offset:         116
        .size:           2
        .value_kind:     hidden_remainder_y
      - .offset:         118
        .size:           2
        .value_kind:     hidden_remainder_z
      - .offset:         136
        .size:           8
        .value_kind:     hidden_global_offset_x
      - .offset:         144
        .size:           8
        .value_kind:     hidden_global_offset_y
      - .offset:         152
        .size:           8
        .value_kind:     hidden_global_offset_z
      - .offset:         160
        .size:           2
        .value_kind:     hidden_grid_dims
    .group_segment_fixed_size: 0
    .kernarg_segment_align: 8
    .kernarg_segment_size: 352
    .language:       OpenCL C
    .language_version:
      - 2
      - 0
    .max_flat_workgroup_size: 1024
    .name:           _ZN2at6native12_GLOBAL__N_128upsample_nearest3d_out_frameIN3c108BFloat16EXadL_ZNS0_43nearest_neighbor_exact_compute_source_indexEfiiEEEEvPKT_mmmmmmmmPS5_fff
    .private_segment_fixed_size: 0
    .sgpr_count:     43
    .sgpr_spill_count: 0
    .symbol:         _ZN2at6native12_GLOBAL__N_128upsample_nearest3d_out_frameIN3c108BFloat16EXadL_ZNS0_43nearest_neighbor_exact_compute_source_indexEfiiEEEEvPKT_mmmmmmmmPS5_fff.kd
    .uniform_work_group_size: 1
    .uses_dynamic_stack: false
    .vgpr_count:     19
    .vgpr_spill_count: 0
    .wavefront_size: 64
  - .args:
      - .address_space:  global
        .offset:         0
        .size:           8
        .value_kind:     global_buffer
      - .offset:         8
        .size:           8
        .value_kind:     by_value
      - .offset:         16
        .size:           8
        .value_kind:     by_value
      - .offset:         24
        .size:           8
        .value_kind:     by_value
      - .offset:         32
        .size:           8
        .value_kind:     by_value
      - .offset:         40
        .size:           8
        .value_kind:     by_value
      - .offset:         48
        .size:           8
        .value_kind:     by_value
      - .offset:         56
        .size:           8
        .value_kind:     by_value
      - .offset:         64
        .size:           8
        .value_kind:     by_value
      - .address_space:  global
        .offset:         72
        .size:           8
        .value_kind:     global_buffer
      - .offset:         80
        .size:           4
        .value_kind:     by_value
      - .offset:         84
        .size:           4
        .value_kind:     by_value
      - .offset:         88
        .size:           4
        .value_kind:     by_value
      - .offset:         96
        .size:           4
        .value_kind:     hidden_block_count_x
      - .offset:         100
        .size:           4
        .value_kind:     hidden_block_count_y
      - .offset:         104
        .size:           4
        .value_kind:     hidden_block_count_z
      - .offset:         108
        .size:           2
        .value_kind:     hidden_group_size_x
      - .offset:         110
        .size:           2
        .value_kind:     hidden_group_size_y
      - .offset:         112
        .size:           2
        .value_kind:     hidden_group_size_z
      - .offset:         114
        .size:           2
        .value_kind:     hidden_remainder_x
      - .offset:         116
        .size:           2
        .value_kind:     hidden_remainder_y
      - .offset:         118
        .size:           2
        .value_kind:     hidden_remainder_z
      - .offset:         136
        .size:           8
        .value_kind:     hidden_global_offset_x
      - .offset:         144
        .size:           8
        .value_kind:     hidden_global_offset_y
      - .offset:         152
        .size:           8
        .value_kind:     hidden_global_offset_z
      - .offset:         160
        .size:           2
        .value_kind:     hidden_grid_dims
    .group_segment_fixed_size: 0
    .kernarg_segment_align: 8
    .kernarg_segment_size: 352
    .language:       OpenCL C
    .language_version:
      - 2
      - 0
    .max_flat_workgroup_size: 1024
    .name:           _ZN2at6native12_GLOBAL__N_128upsample_nearest3d_out_frameIhXadL_ZNS0_43nearest_neighbor_exact_compute_source_indexEfiiEEEEvPKT_mmmmmmmmPS3_fff
    .private_segment_fixed_size: 0
    .sgpr_count:     45
    .sgpr_spill_count: 0
    .symbol:         _ZN2at6native12_GLOBAL__N_128upsample_nearest3d_out_frameIhXadL_ZNS0_43nearest_neighbor_exact_compute_source_indexEfiiEEEEvPKT_mmmmmmmmPS3_fff.kd
    .uniform_work_group_size: 1
    .uses_dynamic_stack: false
    .vgpr_count:     19
    .vgpr_spill_count: 0
    .wavefront_size: 64
  - .args:
      - .address_space:  global
        .offset:         0
        .size:           8
        .value_kind:     global_buffer
      - .offset:         8
        .size:           8
        .value_kind:     by_value
      - .offset:         16
        .size:           8
        .value_kind:     by_value
      - .offset:         24
        .size:           8
        .value_kind:     by_value
      - .offset:         32
        .size:           8
        .value_kind:     by_value
      - .offset:         40
        .size:           8
        .value_kind:     by_value
      - .offset:         48
        .size:           8
        .value_kind:     by_value
      - .offset:         56
        .size:           8
        .value_kind:     by_value
      - .offset:         64
        .size:           8
        .value_kind:     by_value
      - .address_space:  global
        .offset:         72
        .size:           8
        .value_kind:     global_buffer
      - .offset:         80
        .size:           4
        .value_kind:     by_value
      - .offset:         84
        .size:           4
        .value_kind:     by_value
      - .offset:         88
        .size:           4
        .value_kind:     by_value
      - .offset:         96
        .size:           4
        .value_kind:     hidden_block_count_x
      - .offset:         100
        .size:           4
        .value_kind:     hidden_block_count_y
      - .offset:         104
        .size:           4
        .value_kind:     hidden_block_count_z
      - .offset:         108
        .size:           2
        .value_kind:     hidden_group_size_x
      - .offset:         110
        .size:           2
        .value_kind:     hidden_group_size_y
      - .offset:         112
        .size:           2
        .value_kind:     hidden_group_size_z
      - .offset:         114
        .size:           2
        .value_kind:     hidden_remainder_x
      - .offset:         116
        .size:           2
        .value_kind:     hidden_remainder_y
      - .offset:         118
        .size:           2
        .value_kind:     hidden_remainder_z
      - .offset:         136
        .size:           8
        .value_kind:     hidden_global_offset_x
      - .offset:         144
        .size:           8
        .value_kind:     hidden_global_offset_y
      - .offset:         152
        .size:           8
        .value_kind:     hidden_global_offset_z
      - .offset:         160
        .size:           2
        .value_kind:     hidden_grid_dims
    .group_segment_fixed_size: 0
    .kernarg_segment_align: 8
    .kernarg_segment_size: 352
    .language:       OpenCL C
    .language_version:
      - 2
      - 0
    .max_flat_workgroup_size: 1024
    .name:           _ZN2at6native12_GLOBAL__N_137upsample_nearest3d_backward_out_frameIddXadL_ZNS0_40nearest_neighbor_bw_compute_source_indexEfiiEEEEvPKT_mmmmmmmmPS3_fff
    .private_segment_fixed_size: 0
    .sgpr_count:     41
    .sgpr_spill_count: 0
    .symbol:         _ZN2at6native12_GLOBAL__N_137upsample_nearest3d_backward_out_frameIddXadL_ZNS0_40nearest_neighbor_bw_compute_source_indexEfiiEEEEvPKT_mmmmmmmmPS3_fff.kd
    .uniform_work_group_size: 1
    .uses_dynamic_stack: false
    .vgpr_count:     24
    .vgpr_spill_count: 0
    .wavefront_size: 64
  - .args:
      - .address_space:  global
        .offset:         0
        .size:           8
        .value_kind:     global_buffer
      - .offset:         8
        .size:           8
        .value_kind:     by_value
      - .offset:         16
        .size:           8
        .value_kind:     by_value
      - .offset:         24
        .size:           8
        .value_kind:     by_value
      - .offset:         32
        .size:           8
        .value_kind:     by_value
      - .offset:         40
        .size:           8
        .value_kind:     by_value
      - .offset:         48
        .size:           8
        .value_kind:     by_value
      - .offset:         56
        .size:           8
        .value_kind:     by_value
      - .offset:         64
        .size:           8
        .value_kind:     by_value
      - .address_space:  global
        .offset:         72
        .size:           8
        .value_kind:     global_buffer
      - .offset:         80
        .size:           4
        .value_kind:     by_value
      - .offset:         84
        .size:           4
        .value_kind:     by_value
      - .offset:         88
        .size:           4
        .value_kind:     by_value
      - .offset:         96
        .size:           4
        .value_kind:     hidden_block_count_x
      - .offset:         100
        .size:           4
        .value_kind:     hidden_block_count_y
      - .offset:         104
        .size:           4
        .value_kind:     hidden_block_count_z
      - .offset:         108
        .size:           2
        .value_kind:     hidden_group_size_x
      - .offset:         110
        .size:           2
        .value_kind:     hidden_group_size_y
      - .offset:         112
        .size:           2
        .value_kind:     hidden_group_size_z
      - .offset:         114
        .size:           2
        .value_kind:     hidden_remainder_x
      - .offset:         116
        .size:           2
        .value_kind:     hidden_remainder_y
      - .offset:         118
        .size:           2
        .value_kind:     hidden_remainder_z
      - .offset:         136
        .size:           8
        .value_kind:     hidden_global_offset_x
      - .offset:         144
        .size:           8
        .value_kind:     hidden_global_offset_y
      - .offset:         152
        .size:           8
        .value_kind:     hidden_global_offset_z
      - .offset:         160
        .size:           2
        .value_kind:     hidden_grid_dims
    .group_segment_fixed_size: 0
    .kernarg_segment_align: 8
    .kernarg_segment_size: 352
    .language:       OpenCL C
    .language_version:
      - 2
      - 0
    .max_flat_workgroup_size: 1024
    .name:           _ZN2at6native12_GLOBAL__N_137upsample_nearest3d_backward_out_frameIffXadL_ZNS0_40nearest_neighbor_bw_compute_source_indexEfiiEEEEvPKT_mmmmmmmmPS3_fff
    .private_segment_fixed_size: 0
    .sgpr_count:     41
    .sgpr_spill_count: 0
    .symbol:         _ZN2at6native12_GLOBAL__N_137upsample_nearest3d_backward_out_frameIffXadL_ZNS0_40nearest_neighbor_bw_compute_source_indexEfiiEEEEvPKT_mmmmmmmmPS3_fff.kd
    .uniform_work_group_size: 1
    .uses_dynamic_stack: false
    .vgpr_count:     23
    .vgpr_spill_count: 0
    .wavefront_size: 64
  - .args:
      - .address_space:  global
        .offset:         0
        .size:           8
        .value_kind:     global_buffer
      - .offset:         8
        .size:           8
        .value_kind:     by_value
      - .offset:         16
        .size:           8
        .value_kind:     by_value
      - .offset:         24
        .size:           8
        .value_kind:     by_value
      - .offset:         32
        .size:           8
        .value_kind:     by_value
      - .offset:         40
        .size:           8
        .value_kind:     by_value
      - .offset:         48
        .size:           8
        .value_kind:     by_value
      - .offset:         56
        .size:           8
        .value_kind:     by_value
      - .offset:         64
        .size:           8
        .value_kind:     by_value
      - .address_space:  global
        .offset:         72
        .size:           8
        .value_kind:     global_buffer
      - .offset:         80
        .size:           4
        .value_kind:     by_value
      - .offset:         84
        .size:           4
        .value_kind:     by_value
      - .offset:         88
        .size:           4
        .value_kind:     by_value
      - .offset:         96
        .size:           4
        .value_kind:     hidden_block_count_x
      - .offset:         100
        .size:           4
        .value_kind:     hidden_block_count_y
      - .offset:         104
        .size:           4
        .value_kind:     hidden_block_count_z
      - .offset:         108
        .size:           2
        .value_kind:     hidden_group_size_x
      - .offset:         110
        .size:           2
        .value_kind:     hidden_group_size_y
      - .offset:         112
        .size:           2
        .value_kind:     hidden_group_size_z
      - .offset:         114
        .size:           2
        .value_kind:     hidden_remainder_x
      - .offset:         116
        .size:           2
        .value_kind:     hidden_remainder_y
      - .offset:         118
        .size:           2
        .value_kind:     hidden_remainder_z
      - .offset:         136
        .size:           8
        .value_kind:     hidden_global_offset_x
      - .offset:         144
        .size:           8
        .value_kind:     hidden_global_offset_y
      - .offset:         152
        .size:           8
        .value_kind:     hidden_global_offset_z
      - .offset:         160
        .size:           2
        .value_kind:     hidden_grid_dims
    .group_segment_fixed_size: 0
    .kernarg_segment_align: 8
    .kernarg_segment_size: 352
    .language:       OpenCL C
    .language_version:
      - 2
      - 0
    .max_flat_workgroup_size: 1024
    .name:           _ZN2at6native12_GLOBAL__N_137upsample_nearest3d_backward_out_frameIN3c104HalfEfXadL_ZNS0_40nearest_neighbor_bw_compute_source_indexEfiiEEEEvPKT_mmmmmmmmPS5_fff
    .private_segment_fixed_size: 0
    .sgpr_count:     41
    .sgpr_spill_count: 0
    .symbol:         _ZN2at6native12_GLOBAL__N_137upsample_nearest3d_backward_out_frameIN3c104HalfEfXadL_ZNS0_40nearest_neighbor_bw_compute_source_indexEfiiEEEEvPKT_mmmmmmmmPS5_fff.kd
    .uniform_work_group_size: 1
    .uses_dynamic_stack: false
    .vgpr_count:     23
    .vgpr_spill_count: 0
    .wavefront_size: 64
  - .args:
      - .address_space:  global
        .offset:         0
        .size:           8
        .value_kind:     global_buffer
      - .offset:         8
        .size:           8
        .value_kind:     by_value
      - .offset:         16
        .size:           8
        .value_kind:     by_value
      - .offset:         24
        .size:           8
        .value_kind:     by_value
      - .offset:         32
        .size:           8
        .value_kind:     by_value
      - .offset:         40
        .size:           8
        .value_kind:     by_value
      - .offset:         48
        .size:           8
        .value_kind:     by_value
      - .offset:         56
        .size:           8
        .value_kind:     by_value
      - .offset:         64
        .size:           8
        .value_kind:     by_value
      - .address_space:  global
        .offset:         72
        .size:           8
        .value_kind:     global_buffer
      - .offset:         80
        .size:           4
        .value_kind:     by_value
      - .offset:         84
        .size:           4
        .value_kind:     by_value
      - .offset:         88
        .size:           4
        .value_kind:     by_value
      - .offset:         96
        .size:           4
        .value_kind:     hidden_block_count_x
      - .offset:         100
        .size:           4
        .value_kind:     hidden_block_count_y
      - .offset:         104
        .size:           4
        .value_kind:     hidden_block_count_z
      - .offset:         108
        .size:           2
        .value_kind:     hidden_group_size_x
      - .offset:         110
        .size:           2
        .value_kind:     hidden_group_size_y
      - .offset:         112
        .size:           2
        .value_kind:     hidden_group_size_z
      - .offset:         114
        .size:           2
        .value_kind:     hidden_remainder_x
      - .offset:         116
        .size:           2
        .value_kind:     hidden_remainder_y
      - .offset:         118
        .size:           2
        .value_kind:     hidden_remainder_z
      - .offset:         136
        .size:           8
        .value_kind:     hidden_global_offset_x
      - .offset:         144
        .size:           8
        .value_kind:     hidden_global_offset_y
      - .offset:         152
        .size:           8
        .value_kind:     hidden_global_offset_z
      - .offset:         160
        .size:           2
        .value_kind:     hidden_grid_dims
    .group_segment_fixed_size: 0
    .kernarg_segment_align: 8
    .kernarg_segment_size: 352
    .language:       OpenCL C
    .language_version:
      - 2
      - 0
    .max_flat_workgroup_size: 1024
    .name:           _ZN2at6native12_GLOBAL__N_137upsample_nearest3d_backward_out_frameIN3c108BFloat16EfXadL_ZNS0_40nearest_neighbor_bw_compute_source_indexEfiiEEEEvPKT_mmmmmmmmPS5_fff
    .private_segment_fixed_size: 0
    .sgpr_count:     42
    .sgpr_spill_count: 0
    .symbol:         _ZN2at6native12_GLOBAL__N_137upsample_nearest3d_backward_out_frameIN3c108BFloat16EfXadL_ZNS0_40nearest_neighbor_bw_compute_source_indexEfiiEEEEvPKT_mmmmmmmmPS5_fff.kd
    .uniform_work_group_size: 1
    .uses_dynamic_stack: false
    .vgpr_count:     24
    .vgpr_spill_count: 0
    .wavefront_size: 64
  - .args:
      - .address_space:  global
        .offset:         0
        .size:           8
        .value_kind:     global_buffer
      - .offset:         8
        .size:           8
        .value_kind:     by_value
      - .offset:         16
        .size:           8
        .value_kind:     by_value
      - .offset:         24
        .size:           8
        .value_kind:     by_value
      - .offset:         32
        .size:           8
        .value_kind:     by_value
      - .offset:         40
        .size:           8
        .value_kind:     by_value
      - .offset:         48
        .size:           8
        .value_kind:     by_value
      - .offset:         56
        .size:           8
        .value_kind:     by_value
      - .offset:         64
        .size:           8
        .value_kind:     by_value
      - .address_space:  global
        .offset:         72
        .size:           8
        .value_kind:     global_buffer
      - .offset:         80
        .size:           4
        .value_kind:     by_value
      - .offset:         84
        .size:           4
        .value_kind:     by_value
      - .offset:         88
        .size:           4
        .value_kind:     by_value
      - .offset:         96
        .size:           4
        .value_kind:     hidden_block_count_x
      - .offset:         100
        .size:           4
        .value_kind:     hidden_block_count_y
      - .offset:         104
        .size:           4
        .value_kind:     hidden_block_count_z
      - .offset:         108
        .size:           2
        .value_kind:     hidden_group_size_x
      - .offset:         110
        .size:           2
        .value_kind:     hidden_group_size_y
      - .offset:         112
        .size:           2
        .value_kind:     hidden_group_size_z
      - .offset:         114
        .size:           2
        .value_kind:     hidden_remainder_x
      - .offset:         116
        .size:           2
        .value_kind:     hidden_remainder_y
      - .offset:         118
        .size:           2
        .value_kind:     hidden_remainder_z
      - .offset:         136
        .size:           8
        .value_kind:     hidden_global_offset_x
      - .offset:         144
        .size:           8
        .value_kind:     hidden_global_offset_y
      - .offset:         152
        .size:           8
        .value_kind:     hidden_global_offset_z
      - .offset:         160
        .size:           2
        .value_kind:     hidden_grid_dims
    .group_segment_fixed_size: 0
    .kernarg_segment_align: 8
    .kernarg_segment_size: 352
    .language:       OpenCL C
    .language_version:
      - 2
      - 0
    .max_flat_workgroup_size: 1024
    .name:           _ZN2at6native12_GLOBAL__N_137upsample_nearest3d_backward_out_frameIhlXadL_ZNS0_40nearest_neighbor_bw_compute_source_indexEfiiEEEEvPKT_mmmmmmmmPS3_fff
    .private_segment_fixed_size: 0
    .sgpr_count:     41
    .sgpr_spill_count: 0
    .symbol:         _ZN2at6native12_GLOBAL__N_137upsample_nearest3d_backward_out_frameIhlXadL_ZNS0_40nearest_neighbor_bw_compute_source_indexEfiiEEEEvPKT_mmmmmmmmPS3_fff.kd
    .uniform_work_group_size: 1
    .uses_dynamic_stack: false
    .vgpr_count:     23
    .vgpr_spill_count: 0
    .wavefront_size: 64
  - .args:
      - .address_space:  global
        .offset:         0
        .size:           8
        .value_kind:     global_buffer
      - .offset:         8
        .size:           8
        .value_kind:     by_value
      - .offset:         16
        .size:           8
        .value_kind:     by_value
      - .offset:         24
        .size:           8
        .value_kind:     by_value
      - .offset:         32
        .size:           8
        .value_kind:     by_value
      - .offset:         40
        .size:           8
        .value_kind:     by_value
      - .offset:         48
        .size:           8
        .value_kind:     by_value
      - .offset:         56
        .size:           8
        .value_kind:     by_value
      - .offset:         64
        .size:           8
        .value_kind:     by_value
      - .address_space:  global
        .offset:         72
        .size:           8
        .value_kind:     global_buffer
      - .offset:         80
        .size:           4
        .value_kind:     by_value
      - .offset:         84
        .size:           4
        .value_kind:     by_value
      - .offset:         88
        .size:           4
        .value_kind:     by_value
      - .offset:         96
        .size:           4
        .value_kind:     hidden_block_count_x
      - .offset:         100
        .size:           4
        .value_kind:     hidden_block_count_y
      - .offset:         104
        .size:           4
        .value_kind:     hidden_block_count_z
      - .offset:         108
        .size:           2
        .value_kind:     hidden_group_size_x
      - .offset:         110
        .size:           2
        .value_kind:     hidden_group_size_y
      - .offset:         112
        .size:           2
        .value_kind:     hidden_group_size_z
      - .offset:         114
        .size:           2
        .value_kind:     hidden_remainder_x
      - .offset:         116
        .size:           2
        .value_kind:     hidden_remainder_y
      - .offset:         118
        .size:           2
        .value_kind:     hidden_remainder_z
      - .offset:         136
        .size:           8
        .value_kind:     hidden_global_offset_x
      - .offset:         144
        .size:           8
        .value_kind:     hidden_global_offset_y
      - .offset:         152
        .size:           8
        .value_kind:     hidden_global_offset_z
      - .offset:         160
        .size:           2
        .value_kind:     hidden_grid_dims
    .group_segment_fixed_size: 0
    .kernarg_segment_align: 8
    .kernarg_segment_size: 352
    .language:       OpenCL C
    .language_version:
      - 2
      - 0
    .max_flat_workgroup_size: 1024
    .name:           _ZN2at6native12_GLOBAL__N_137upsample_nearest3d_backward_out_frameIddXadL_ZNS0_46nearest_neighbor_exact_bw_compute_source_indexEfiiEEEEvPKT_mmmmmmmmPS3_fff
    .private_segment_fixed_size: 0
    .sgpr_count:     41
    .sgpr_spill_count: 0
    .symbol:         _ZN2at6native12_GLOBAL__N_137upsample_nearest3d_backward_out_frameIddXadL_ZNS0_46nearest_neighbor_exact_bw_compute_source_indexEfiiEEEEvPKT_mmmmmmmmPS3_fff.kd
    .uniform_work_group_size: 1
    .uses_dynamic_stack: false
    .vgpr_count:     24
    .vgpr_spill_count: 0
    .wavefront_size: 64
  - .args:
      - .address_space:  global
        .offset:         0
        .size:           8
        .value_kind:     global_buffer
      - .offset:         8
        .size:           8
        .value_kind:     by_value
      - .offset:         16
        .size:           8
        .value_kind:     by_value
      - .offset:         24
        .size:           8
        .value_kind:     by_value
      - .offset:         32
        .size:           8
        .value_kind:     by_value
      - .offset:         40
        .size:           8
        .value_kind:     by_value
      - .offset:         48
        .size:           8
        .value_kind:     by_value
      - .offset:         56
        .size:           8
        .value_kind:     by_value
      - .offset:         64
        .size:           8
        .value_kind:     by_value
      - .address_space:  global
        .offset:         72
        .size:           8
        .value_kind:     global_buffer
      - .offset:         80
        .size:           4
        .value_kind:     by_value
      - .offset:         84
        .size:           4
        .value_kind:     by_value
      - .offset:         88
        .size:           4
        .value_kind:     by_value
      - .offset:         96
        .size:           4
        .value_kind:     hidden_block_count_x
      - .offset:         100
        .size:           4
        .value_kind:     hidden_block_count_y
      - .offset:         104
        .size:           4
        .value_kind:     hidden_block_count_z
      - .offset:         108
        .size:           2
        .value_kind:     hidden_group_size_x
      - .offset:         110
        .size:           2
        .value_kind:     hidden_group_size_y
      - .offset:         112
        .size:           2
        .value_kind:     hidden_group_size_z
      - .offset:         114
        .size:           2
        .value_kind:     hidden_remainder_x
      - .offset:         116
        .size:           2
        .value_kind:     hidden_remainder_y
      - .offset:         118
        .size:           2
        .value_kind:     hidden_remainder_z
      - .offset:         136
        .size:           8
        .value_kind:     hidden_global_offset_x
      - .offset:         144
        .size:           8
        .value_kind:     hidden_global_offset_y
      - .offset:         152
        .size:           8
        .value_kind:     hidden_global_offset_z
      - .offset:         160
        .size:           2
        .value_kind:     hidden_grid_dims
    .group_segment_fixed_size: 0
    .kernarg_segment_align: 8
    .kernarg_segment_size: 352
    .language:       OpenCL C
    .language_version:
      - 2
      - 0
    .max_flat_workgroup_size: 1024
    .name:           _ZN2at6native12_GLOBAL__N_137upsample_nearest3d_backward_out_frameIffXadL_ZNS0_46nearest_neighbor_exact_bw_compute_source_indexEfiiEEEEvPKT_mmmmmmmmPS3_fff
    .private_segment_fixed_size: 0
    .sgpr_count:     41
    .sgpr_spill_count: 0
    .symbol:         _ZN2at6native12_GLOBAL__N_137upsample_nearest3d_backward_out_frameIffXadL_ZNS0_46nearest_neighbor_exact_bw_compute_source_indexEfiiEEEEvPKT_mmmmmmmmPS3_fff.kd
    .uniform_work_group_size: 1
    .uses_dynamic_stack: false
    .vgpr_count:     23
    .vgpr_spill_count: 0
    .wavefront_size: 64
  - .args:
      - .address_space:  global
        .offset:         0
        .size:           8
        .value_kind:     global_buffer
      - .offset:         8
        .size:           8
        .value_kind:     by_value
      - .offset:         16
        .size:           8
        .value_kind:     by_value
      - .offset:         24
        .size:           8
        .value_kind:     by_value
      - .offset:         32
        .size:           8
        .value_kind:     by_value
      - .offset:         40
        .size:           8
        .value_kind:     by_value
      - .offset:         48
        .size:           8
        .value_kind:     by_value
      - .offset:         56
        .size:           8
        .value_kind:     by_value
      - .offset:         64
        .size:           8
        .value_kind:     by_value
      - .address_space:  global
        .offset:         72
        .size:           8
        .value_kind:     global_buffer
      - .offset:         80
        .size:           4
        .value_kind:     by_value
      - .offset:         84
        .size:           4
        .value_kind:     by_value
      - .offset:         88
        .size:           4
        .value_kind:     by_value
      - .offset:         96
        .size:           4
        .value_kind:     hidden_block_count_x
      - .offset:         100
        .size:           4
        .value_kind:     hidden_block_count_y
      - .offset:         104
        .size:           4
        .value_kind:     hidden_block_count_z
      - .offset:         108
        .size:           2
        .value_kind:     hidden_group_size_x
      - .offset:         110
        .size:           2
        .value_kind:     hidden_group_size_y
      - .offset:         112
        .size:           2
        .value_kind:     hidden_group_size_z
      - .offset:         114
        .size:           2
        .value_kind:     hidden_remainder_x
      - .offset:         116
        .size:           2
        .value_kind:     hidden_remainder_y
      - .offset:         118
        .size:           2
        .value_kind:     hidden_remainder_z
      - .offset:         136
        .size:           8
        .value_kind:     hidden_global_offset_x
      - .offset:         144
        .size:           8
        .value_kind:     hidden_global_offset_y
      - .offset:         152
        .size:           8
        .value_kind:     hidden_global_offset_z
      - .offset:         160
        .size:           2
        .value_kind:     hidden_grid_dims
    .group_segment_fixed_size: 0
    .kernarg_segment_align: 8
    .kernarg_segment_size: 352
    .language:       OpenCL C
    .language_version:
      - 2
      - 0
    .max_flat_workgroup_size: 1024
    .name:           _ZN2at6native12_GLOBAL__N_137upsample_nearest3d_backward_out_frameIN3c104HalfEfXadL_ZNS0_46nearest_neighbor_exact_bw_compute_source_indexEfiiEEEEvPKT_mmmmmmmmPS5_fff
    .private_segment_fixed_size: 0
    .sgpr_count:     41
    .sgpr_spill_count: 0
    .symbol:         _ZN2at6native12_GLOBAL__N_137upsample_nearest3d_backward_out_frameIN3c104HalfEfXadL_ZNS0_46nearest_neighbor_exact_bw_compute_source_indexEfiiEEEEvPKT_mmmmmmmmPS5_fff.kd
    .uniform_work_group_size: 1
    .uses_dynamic_stack: false
    .vgpr_count:     23
    .vgpr_spill_count: 0
    .wavefront_size: 64
  - .args:
      - .address_space:  global
        .offset:         0
        .size:           8
        .value_kind:     global_buffer
      - .offset:         8
        .size:           8
        .value_kind:     by_value
      - .offset:         16
        .size:           8
        .value_kind:     by_value
      - .offset:         24
        .size:           8
        .value_kind:     by_value
      - .offset:         32
        .size:           8
        .value_kind:     by_value
      - .offset:         40
        .size:           8
        .value_kind:     by_value
      - .offset:         48
        .size:           8
        .value_kind:     by_value
      - .offset:         56
        .size:           8
        .value_kind:     by_value
      - .offset:         64
        .size:           8
        .value_kind:     by_value
      - .address_space:  global
        .offset:         72
        .size:           8
        .value_kind:     global_buffer
      - .offset:         80
        .size:           4
        .value_kind:     by_value
      - .offset:         84
        .size:           4
        .value_kind:     by_value
      - .offset:         88
        .size:           4
        .value_kind:     by_value
      - .offset:         96
        .size:           4
        .value_kind:     hidden_block_count_x
      - .offset:         100
        .size:           4
        .value_kind:     hidden_block_count_y
      - .offset:         104
        .size:           4
        .value_kind:     hidden_block_count_z
      - .offset:         108
        .size:           2
        .value_kind:     hidden_group_size_x
      - .offset:         110
        .size:           2
        .value_kind:     hidden_group_size_y
      - .offset:         112
        .size:           2
        .value_kind:     hidden_group_size_z
      - .offset:         114
        .size:           2
        .value_kind:     hidden_remainder_x
      - .offset:         116
        .size:           2
        .value_kind:     hidden_remainder_y
      - .offset:         118
        .size:           2
        .value_kind:     hidden_remainder_z
      - .offset:         136
        .size:           8
        .value_kind:     hidden_global_offset_x
      - .offset:         144
        .size:           8
        .value_kind:     hidden_global_offset_y
      - .offset:         152
        .size:           8
        .value_kind:     hidden_global_offset_z
      - .offset:         160
        .size:           2
        .value_kind:     hidden_grid_dims
    .group_segment_fixed_size: 0
    .kernarg_segment_align: 8
    .kernarg_segment_size: 352
    .language:       OpenCL C
    .language_version:
      - 2
      - 0
    .max_flat_workgroup_size: 1024
    .name:           _ZN2at6native12_GLOBAL__N_137upsample_nearest3d_backward_out_frameIN3c108BFloat16EfXadL_ZNS0_46nearest_neighbor_exact_bw_compute_source_indexEfiiEEEEvPKT_mmmmmmmmPS5_fff
    .private_segment_fixed_size: 0
    .sgpr_count:     42
    .sgpr_spill_count: 0
    .symbol:         _ZN2at6native12_GLOBAL__N_137upsample_nearest3d_backward_out_frameIN3c108BFloat16EfXadL_ZNS0_46nearest_neighbor_exact_bw_compute_source_indexEfiiEEEEvPKT_mmmmmmmmPS5_fff.kd
    .uniform_work_group_size: 1
    .uses_dynamic_stack: false
    .vgpr_count:     24
    .vgpr_spill_count: 0
    .wavefront_size: 64
  - .args:
      - .address_space:  global
        .offset:         0
        .size:           8
        .value_kind:     global_buffer
      - .offset:         8
        .size:           8
        .value_kind:     by_value
      - .offset:         16
        .size:           8
        .value_kind:     by_value
      - .offset:         24
        .size:           8
        .value_kind:     by_value
      - .offset:         32
        .size:           8
        .value_kind:     by_value
      - .offset:         40
        .size:           8
        .value_kind:     by_value
      - .offset:         48
        .size:           8
        .value_kind:     by_value
      - .offset:         56
        .size:           8
        .value_kind:     by_value
      - .offset:         64
        .size:           8
        .value_kind:     by_value
      - .address_space:  global
        .offset:         72
        .size:           8
        .value_kind:     global_buffer
      - .offset:         80
        .size:           4
        .value_kind:     by_value
      - .offset:         84
        .size:           4
        .value_kind:     by_value
      - .offset:         88
        .size:           4
        .value_kind:     by_value
      - .offset:         96
        .size:           4
        .value_kind:     hidden_block_count_x
      - .offset:         100
        .size:           4
        .value_kind:     hidden_block_count_y
      - .offset:         104
        .size:           4
        .value_kind:     hidden_block_count_z
      - .offset:         108
        .size:           2
        .value_kind:     hidden_group_size_x
      - .offset:         110
        .size:           2
        .value_kind:     hidden_group_size_y
      - .offset:         112
        .size:           2
        .value_kind:     hidden_group_size_z
      - .offset:         114
        .size:           2
        .value_kind:     hidden_remainder_x
      - .offset:         116
        .size:           2
        .value_kind:     hidden_remainder_y
      - .offset:         118
        .size:           2
        .value_kind:     hidden_remainder_z
      - .offset:         136
        .size:           8
        .value_kind:     hidden_global_offset_x
      - .offset:         144
        .size:           8
        .value_kind:     hidden_global_offset_y
      - .offset:         152
        .size:           8
        .value_kind:     hidden_global_offset_z
      - .offset:         160
        .size:           2
        .value_kind:     hidden_grid_dims
    .group_segment_fixed_size: 0
    .kernarg_segment_align: 8
    .kernarg_segment_size: 352
    .language:       OpenCL C
    .language_version:
      - 2
      - 0
    .max_flat_workgroup_size: 1024
    .name:           _ZN2at6native12_GLOBAL__N_137upsample_nearest3d_backward_out_frameIhlXadL_ZNS0_46nearest_neighbor_exact_bw_compute_source_indexEfiiEEEEvPKT_mmmmmmmmPS3_fff
    .private_segment_fixed_size: 0
    .sgpr_count:     41
    .sgpr_spill_count: 0
    .symbol:         _ZN2at6native12_GLOBAL__N_137upsample_nearest3d_backward_out_frameIhlXadL_ZNS0_46nearest_neighbor_exact_bw_compute_source_indexEfiiEEEEvPKT_mmmmmmmmPS3_fff.kd
    .uniform_work_group_size: 1
    .uses_dynamic_stack: false
    .vgpr_count:     23
    .vgpr_spill_count: 0
    .wavefront_size: 64
amdhsa.target:   amdgcn-amd-amdhsa--gfx906
amdhsa.version:
  - 1
  - 2
...

	.end_amdgpu_metadata
